;; amdgpu-corpus repo=ROCm/rocFFT kind=compiled arch=gfx1201 opt=O3
	.text
	.amdgcn_target "amdgcn-amd-amdhsa--gfx1201"
	.amdhsa_code_object_version 6
	.protected	bluestein_single_fwd_len2430_dim1_dp_op_CI_CI ; -- Begin function bluestein_single_fwd_len2430_dim1_dp_op_CI_CI
	.globl	bluestein_single_fwd_len2430_dim1_dp_op_CI_CI
	.p2align	8
	.type	bluestein_single_fwd_len2430_dim1_dp_op_CI_CI,@function
bluestein_single_fwd_len2430_dim1_dp_op_CI_CI: ; @bluestein_single_fwd_len2430_dim1_dp_op_CI_CI
; %bb.0:
	s_load_b128 s[16:19], s[0:1], 0x28
	v_mul_u32_u24_e32 v1, 0x32a, v0
	s_mov_b32 s2, exec_lo
	v_mov_b32_e32 v3, 0
	s_delay_alu instid0(VALU_DEP_2) | instskip(NEXT) | instid1(VALU_DEP_1)
	v_lshrrev_b32_e32 v1, 16, v1
	v_add_nc_u32_e32 v2, ttmp9, v1
	s_wait_kmcnt 0x0
	s_delay_alu instid0(VALU_DEP_1)
	v_cmpx_gt_u64_e64 s[16:17], v[2:3]
	s_cbranch_execz .LBB0_2
; %bb.1:
	s_clause 0x1
	s_load_b128 s[4:7], s[0:1], 0x18
	s_load_b128 s[8:11], s[0:1], 0x0
	v_mul_lo_u16 v1, 0x51, v1
	s_mov_b32 s20, 0x134454ff
	s_mov_b32 s21, 0x3fee6f0e
	;; [unrolled: 1-line block ×4, first 2 shown]
	v_sub_nc_u16 v214, v0, v1
	s_mov_b32 s17, 0xbfe2cf23
	s_mov_b32 s24, 0x9b97f4a8
	;; [unrolled: 1-line block ×3, first 2 shown]
	s_delay_alu instid0(VALU_DEP_1)
	v_dual_mov_b32 v4, v2 :: v_dual_and_b32 v7, 0xffff, v214
	s_mov_b32 s27, 0xbfd3c6ef
	s_mov_b32 s29, 0xbfe9e377
	;; [unrolled: 1-line block ×3, first 2 shown]
	scratch_store_b64 off, v[4:5], off      ; 8-byte Folded Spill
	v_mov_b32_e32 v215, v7
	s_load_b64 s[0:1], s[0:1], 0x38
	s_wait_kmcnt 0x0
	s_load_b128 s[12:15], s[4:5], 0x0
	s_delay_alu instid0(VALU_DEP_1)
	v_lshlrev_b32_e32 v152, 4, v215
	global_load_b128 v[43:46], v152, s[8:9]
	s_wait_kmcnt 0x0
	v_mad_co_u64_u32 v[0:1], null, s14, v2, 0
	v_mad_co_u64_u32 v[2:3], null, s12, v7, 0
	s_mul_u64 s[2:3], s[12:13], 0xf30
	s_mul_i32 s4, s13, 0xffff7c60
	s_delay_alu instid0(SALU_CYCLE_1) | instskip(NEXT) | instid1(VALU_DEP_1)
	s_sub_co_i32 s4, s4, s12
	v_mad_co_u64_u32 v[4:5], null, s15, v4, v[1:2]
	s_mov_b32 s14, 0x4755a5e
	s_mov_b32 s15, 0x3fe2cf23
	s_wait_alu 0xfffe
	s_mov_b32 s16, s14
	s_delay_alu instid0(VALU_DEP_1) | instskip(SKIP_2) | instid1(VALU_DEP_2)
	v_mov_b32_e32 v1, v4
	v_mad_co_u64_u32 v[5:6], null, s13, v7, v[3:4]
	s_mov_b32 s13, 0xbfebb67a
	v_lshlrev_b64_e32 v[0:1], 4, v[0:1]
	s_delay_alu instid0(VALU_DEP_2) | instskip(NEXT) | instid1(VALU_DEP_2)
	v_mov_b32_e32 v3, v5
	v_add_co_u32 v0, vcc_lo, s18, v0
	s_delay_alu instid0(VALU_DEP_3)
	v_add_co_ci_u32_e32 v1, vcc_lo, s19, v1, vcc_lo
	s_mov_b32 s18, 0x372fe950
	s_mov_b32 s19, 0x3fd3c6ef
	s_wait_alu 0xfffe
	s_mov_b32 s26, s18
	s_wait_loadcnt 0x0
	v_mov_b32_e32 v102, v46
	v_mov_b32_e32 v100, v44
	v_lshlrev_b64_e32 v[2:3], 4, v[2:3]
	s_delay_alu instid0(VALU_DEP_1) | instskip(SKIP_1) | instid1(VALU_DEP_2)
	v_add_co_u32 v0, vcc_lo, v0, v2
	s_wait_alu 0xfffd
	v_add_co_ci_u32_e32 v1, vcc_lo, v1, v3, vcc_lo
	s_delay_alu instid0(VALU_DEP_2) | instskip(SKIP_1) | instid1(VALU_DEP_2)
	v_add_co_u32 v8, vcc_lo, v0, s2
	s_wait_alu 0xfffd
	v_add_co_ci_u32_e32 v9, vcc_lo, s3, v1, vcc_lo
	global_load_b128 v[0:3], v[0:1], off
	global_load_b128 v[39:42], v152, s[8:9] offset:3888
	global_load_b128 v[4:7], v[8:9], off
	s_clause 0x1
	global_load_b128 v[65:68], v152, s[8:9] offset:7776
	global_load_b128 v[57:60], v152, s[8:9] offset:11664
	v_add_co_u32 v8, vcc_lo, v8, s2
	global_load_b128 v[61:64], v152, s[8:9] offset:15552
	v_mov_b32_e32 v101, v45
	v_mov_b32_e32 v99, v43
	s_wait_alu 0xfffd
	v_add_co_ci_u32_e32 v9, vcc_lo, s3, v9, vcc_lo
	v_add_co_u32 v10, vcc_lo, v8, s2
	s_wait_alu 0xfffd
	s_delay_alu instid0(VALU_DEP_2)
	v_add_co_ci_u32_e32 v11, vcc_lo, s3, v9, vcc_lo
	s_clause 0x1
	global_load_b128 v[12:15], v[8:9], off
	global_load_b128 v[16:19], v[10:11], off
	v_add_co_u32 v8, vcc_lo, v10, s2
	s_wait_alu 0xfffd
	v_add_co_ci_u32_e32 v9, vcc_lo, s3, v11, vcc_lo
	s_delay_alu instid0(VALU_DEP_2) | instskip(SKIP_1) | instid1(VALU_DEP_2)
	v_add_co_u32 v25, vcc_lo, v8, s2
	s_wait_alu 0xfffd
	v_add_co_ci_u32_e32 v26, vcc_lo, s3, v9, vcc_lo
	global_load_b128 v[8:11], v[8:9], off
	global_load_b128 v[53:56], v152, s[8:9] offset:19440
	global_load_b128 v[20:23], v[25:26], off
	v_add_co_u32 v24, vcc_lo, v25, s2
	global_load_b128 v[73:76], v152, s[8:9] offset:23328
	s_wait_alu 0xfffd
	v_add_co_ci_u32_e32 v25, vcc_lo, s3, v26, vcc_lo
	v_add_co_u32 v33, vcc_lo, v24, s2
	s_wait_alu 0xfffd
	s_delay_alu instid0(VALU_DEP_2)
	v_add_co_ci_u32_e32 v34, vcc_lo, s3, v25, vcc_lo
	global_load_b128 v[25:28], v[24:25], off
	global_load_b128 v[69:72], v152, s[8:9] offset:27216
	global_load_b128 v[29:32], v[33:34], off
	global_load_b128 v[77:80], v152, s[8:9] offset:1296
	v_add_co_u32 v33, vcc_lo, v33, s2
	s_clause 0x5
	global_load_b128 v[87:90], v152, s[8:9] offset:2592
	global_load_b128 v[91:94], v152, s[8:9] offset:9072
	;; [unrolled: 1-line block ×6, first 2 shown]
	s_wait_alu 0xfffd
	v_add_co_ci_u32_e32 v34, vcc_lo, s3, v34, vcc_lo
	s_wait_loadcnt 0x15
	v_mul_f64_e32 v[35:36], v[2:3], v[45:46]
	v_mul_f64_e32 v[37:38], v[0:1], v[45:46]
	s_wait_loadcnt 0x14
	v_dual_mov_b32 v46, v42 :: v_dual_mov_b32 v45, v41
	v_dual_mov_b32 v44, v40 :: v_dual_mov_b32 v43, v39
	scratch_store_b128 off, v[99:102], off offset:472 ; 16-byte Folded Spill
	s_wait_loadcnt 0x11
	scratch_store_b128 off, v[57:60], off offset:56 ; 16-byte Folded Spill
	v_dual_mov_b32 v110, v46 :: v_dual_mov_b32 v109, v45
	v_mul_f64_e32 v[39:40], v[6:7], v[45:46]
	v_dual_mov_b32 v108, v44 :: v_dual_mov_b32 v107, v43
	v_mul_f64_e32 v[41:42], v[4:5], v[45:46]
	scratch_store_b128 off, v[65:68], off offset:264 ; 16-byte Folded Spill
	s_wait_loadcnt 0xf
	v_mul_f64_e32 v[43:44], v[14:15], v[67:68]
	v_mul_f64_e32 v[45:46], v[12:13], v[67:68]
	scratch_store_b128 off, v[107:110], off offset:296 ; 16-byte Folded Spill
	s_wait_loadcnt 0xe
	v_mul_f64_e32 v[47:48], v[18:19], v[59:60]
	v_mul_f64_e32 v[49:50], v[16:17], v[59:60]
	s_wait_loadcnt 0xd
	v_mul_f64_e32 v[51:52], v[10:11], v[63:64]
	s_wait_loadcnt 0xa
	scratch_store_b128 off, v[73:76], off offset:72 ; 16-byte Folded Spill
	v_fma_f64 v[0:1], v[0:1], v[99:100], v[35:36]
	v_mul_f64_e32 v[35:36], v[8:9], v[63:64]
	v_fma_f64 v[2:3], v[2:3], v[99:100], -v[37:38]
	v_mul_f64_e32 v[37:38], v[22:23], v[55:56]
	global_load_b128 v[99:102], v152, s[8:9] offset:24624
	v_fma_f64 v[4:5], v[4:5], v[107:108], v[39:40]
	v_mul_f64_e32 v[39:40], v[20:21], v[55:56]
	v_fma_f64 v[6:7], v[6:7], v[107:108], -v[41:42]
	v_mov_b32_e32 v110, v56
	s_wait_loadcnt 0xa
	v_mul_f64_e32 v[41:42], v[27:28], v[75:76]
	v_dual_mov_b32 v108, v54 :: v_dual_mov_b32 v107, v53
	v_mov_b32_e32 v109, v55
	scratch_store_b128 off, v[61:64], off offset:168 ; 16-byte Folded Spill
	v_fma_f64 v[12:13], v[12:13], v[65:66], v[43:44]
	s_wait_loadcnt 0x8
	v_mul_f64_e32 v[43:44], v[31:32], v[71:72]
	v_fma_f64 v[14:15], v[14:15], v[65:66], -v[45:46]
	scratch_store_b128 off, v[107:110], off offset:88 ; 16-byte Folded Spill
	v_fma_f64 v[16:17], v[16:17], v[57:58], v[47:48]
	v_fma_f64 v[18:19], v[18:19], v[57:58], -v[49:50]
	v_fma_f64 v[8:9], v[8:9], v[61:62], v[51:52]
	v_fma_f64 v[10:11], v[10:11], v[61:62], -v[35:36]
	v_mul_f64_e32 v[35:36], v[25:26], v[75:76]
	v_fma_f64 v[20:21], v[20:21], v[107:108], v[37:38]
	v_fma_f64 v[22:23], v[22:23], v[107:108], -v[39:40]
	v_mul_f64_e32 v[39:40], v[29:30], v[71:72]
	global_load_b128 v[107:110], v152, s[8:9] offset:32400
	v_fma_f64 v[25:26], v[25:26], v[73:74], v[41:42]
	v_fma_f64 v[29:30], v[29:30], v[69:70], v[43:44]
	global_load_b128 v[43:46], v152, s[8:9] offset:31104
	scratch_store_b128 off, v[69:72], off offset:8 ; 16-byte Folded Spill
	v_fma_f64 v[27:28], v[27:28], v[73:74], -v[35:36]
	global_load_b128 v[35:38], v[33:34], off
	v_add_co_u32 v33, vcc_lo, v33, s2
	s_wait_alu 0xfffd
	v_add_co_ci_u32_e32 v34, vcc_lo, s3, v34, vcc_lo
	v_fma_f64 v[31:32], v[31:32], v[69:70], -v[39:40]
	s_wait_loadcnt 0x1
	scratch_store_b128 off, v[43:46], off offset:24 ; 16-byte Folded Spill
	s_wait_loadcnt 0x0
	v_mul_f64_e32 v[39:40], v[37:38], v[45:46]
	v_mul_f64_e32 v[41:42], v[35:36], v[45:46]
	s_delay_alu instid0(VALU_DEP_2) | instskip(NEXT) | instid1(VALU_DEP_2)
	v_fma_f64 v[35:36], v[35:36], v[43:44], v[39:40]
	v_fma_f64 v[37:38], v[37:38], v[43:44], -v[41:42]
	global_load_b128 v[39:42], v[33:34], off
	global_load_b128 v[47:50], v152, s[8:9] offset:34992
	v_mad_co_u64_u32 v[33:34], null, 0xffff7c60, s12, v[33:34]
	global_load_b128 v[123:126], v152, s[8:9] offset:33696
	scratch_store_b128 off, v[77:80], off offset:104 ; 16-byte Folded Spill
	v_add_nc_u32_e32 v34, s4, v34
	s_wait_loadcnt 0x1
	v_mul_f64_e32 v[43:44], v[41:42], v[49:50]
	v_mul_f64_e32 v[45:46], v[39:40], v[49:50]
	scratch_store_b128 off, v[47:50], off offset:40 ; 16-byte Folded Spill
	v_fma_f64 v[39:40], v[39:40], v[47:48], v[43:44]
	v_fma_f64 v[41:42], v[41:42], v[47:48], -v[45:46]
	global_load_b128 v[43:46], v[33:34], off
	v_add_co_u32 v33, vcc_lo, v33, s2
	s_wait_alu 0xfffd
	v_add_co_ci_u32_e32 v34, vcc_lo, s3, v34, vcc_lo
	s_wait_loadcnt 0x0
	v_mul_f64_e32 v[47:48], v[45:46], v[79:80]
	v_mul_f64_e32 v[49:50], v[43:44], v[79:80]
	s_delay_alu instid0(VALU_DEP_2) | instskip(NEXT) | instid1(VALU_DEP_2)
	v_fma_f64 v[43:44], v[43:44], v[77:78], v[47:48]
	v_fma_f64 v[45:46], v[45:46], v[77:78], -v[49:50]
	global_load_b128 v[47:50], v[33:34], off
	global_load_b128 v[55:58], v152, s[8:9] offset:5184
	v_add_co_u32 v33, vcc_lo, v33, s2
	global_load_b128 v[115:118], v152, s[8:9] offset:6480
	s_wait_alu 0xfffd
	v_add_co_ci_u32_e32 v34, vcc_lo, s3, v34, vcc_lo
	scratch_store_b128 off, v[91:94], off offset:136 ; 16-byte Folded Spill
	s_wait_loadcnt 0x1
	v_mul_f64_e32 v[51:52], v[49:50], v[57:58]
	v_mul_f64_e32 v[53:54], v[47:48], v[57:58]
	scratch_store_b128 off, v[55:58], off offset:120 ; 16-byte Folded Spill
	v_fma_f64 v[47:48], v[47:48], v[55:56], v[51:52]
	v_fma_f64 v[49:50], v[49:50], v[55:56], -v[53:54]
	global_load_b128 v[51:54], v[33:34], off
	v_add_co_u32 v33, vcc_lo, v33, s2
	s_wait_alu 0xfffd
	v_add_co_ci_u32_e32 v34, vcc_lo, s3, v34, vcc_lo
	s_wait_loadcnt 0x0
	v_mul_f64_e32 v[55:56], v[53:54], v[93:94]
	v_mul_f64_e32 v[57:58], v[51:52], v[93:94]
	s_delay_alu instid0(VALU_DEP_2) | instskip(NEXT) | instid1(VALU_DEP_2)
	v_fma_f64 v[51:52], v[51:52], v[91:92], v[55:56]
	v_fma_f64 v[53:54], v[53:54], v[91:92], -v[57:58]
	global_load_b128 v[55:58], v[33:34], off
	global_load_b128 v[63:66], v152, s[8:9] offset:12960
	v_add_co_u32 v33, vcc_lo, v33, s2
	global_load_b128 v[119:122], v152, s[8:9] offset:14256
	s_wait_alu 0xfffd
	v_add_co_ci_u32_e32 v34, vcc_lo, s3, v34, vcc_lo
	scratch_store_b128 off, v[81:84], off offset:184 ; 16-byte Folded Spill
	s_wait_loadcnt 0x1
	v_mul_f64_e32 v[59:60], v[57:58], v[65:66]
	v_mul_f64_e32 v[61:62], v[55:56], v[65:66]
	scratch_store_b128 off, v[63:66], off offset:152 ; 16-byte Folded Spill
	v_fma_f64 v[55:56], v[55:56], v[63:64], v[59:60]
	v_fma_f64 v[57:58], v[57:58], v[63:64], -v[61:62]
	global_load_b128 v[59:62], v[33:34], off
	v_add_co_u32 v33, vcc_lo, v33, s2
	s_wait_alu 0xfffd
	v_add_co_ci_u32_e32 v34, vcc_lo, s3, v34, vcc_lo
	s_wait_loadcnt 0x0
	v_mul_f64_e32 v[63:64], v[61:62], v[83:84]
	v_mul_f64_e32 v[65:66], v[59:60], v[83:84]
	s_delay_alu instid0(VALU_DEP_2) | instskip(NEXT) | instid1(VALU_DEP_2)
	v_fma_f64 v[59:60], v[59:60], v[81:82], v[63:64]
	v_fma_f64 v[61:62], v[61:62], v[81:82], -v[65:66]
	global_load_b128 v[63:66], v[33:34], off
	global_load_b128 v[71:74], v152, s[8:9] offset:20736
	v_add_co_u32 v33, vcc_lo, v33, s2
	global_load_b128 v[127:130], v152, s[8:9] offset:22032
	s_wait_alu 0xfffd
	v_add_co_ci_u32_e32 v34, vcc_lo, s3, v34, vcc_lo
	scratch_store_b128 off, v[99:102], off offset:216 ; 16-byte Folded Spill
	s_wait_loadcnt 0x1
	v_mul_f64_e32 v[67:68], v[65:66], v[73:74]
	v_mul_f64_e32 v[69:70], v[63:64], v[73:74]
	scratch_store_b128 off, v[71:74], off offset:200 ; 16-byte Folded Spill
	v_fma_f64 v[63:64], v[63:64], v[71:72], v[67:68]
	v_fma_f64 v[65:66], v[65:66], v[71:72], -v[69:70]
	global_load_b128 v[67:70], v[33:34], off
	v_add_co_u32 v33, vcc_lo, v33, s2
	s_wait_alu 0xfffd
	v_add_co_ci_u32_e32 v34, vcc_lo, s3, v34, vcc_lo
	s_wait_loadcnt 0x0
	v_mul_f64_e32 v[71:72], v[69:70], v[101:102]
	v_mul_f64_e32 v[73:74], v[67:68], v[101:102]
	s_delay_alu instid0(VALU_DEP_2) | instskip(NEXT) | instid1(VALU_DEP_2)
	v_fma_f64 v[67:68], v[67:68], v[99:100], v[71:72]
	v_fma_f64 v[69:70], v[69:70], v[99:100], -v[73:74]
	global_load_b128 v[71:74], v[33:34], off
	global_load_b128 v[79:82], v152, s[8:9] offset:28512
	v_add_co_u32 v33, vcc_lo, v33, s2
	global_load_b128 v[131:134], v152, s[8:9] offset:29808
	v_dual_mov_b32 v102, v98 :: v_dual_mov_b32 v101, v97
	v_dual_mov_b32 v100, v96 :: v_dual_mov_b32 v99, v95
	s_wait_alu 0xfffd
	v_add_co_ci_u32_e32 v34, vcc_lo, s3, v34, vcc_lo
	scratch_store_b128 off, v[107:110], off offset:248 ; 16-byte Folded Spill
	s_wait_loadcnt 0x1
	v_mul_f64_e32 v[75:76], v[73:74], v[81:82]
	v_mul_f64_e32 v[77:78], v[71:72], v[81:82]
	scratch_store_b128 off, v[79:82], off offset:232 ; 16-byte Folded Spill
	v_fma_f64 v[71:72], v[71:72], v[79:80], v[75:76]
	v_fma_f64 v[73:74], v[73:74], v[79:80], -v[77:78]
	global_load_b128 v[75:78], v[33:34], off
	v_add_co_u32 v33, vcc_lo, v33, s2
	s_wait_alu 0xfffd
	v_add_co_ci_u32_e32 v34, vcc_lo, s3, v34, vcc_lo
	s_wait_loadcnt 0x0
	v_mul_f64_e32 v[79:80], v[77:78], v[109:110]
	v_mul_f64_e32 v[81:82], v[75:76], v[109:110]
	s_delay_alu instid0(VALU_DEP_2) | instskip(NEXT) | instid1(VALU_DEP_2)
	v_fma_f64 v[75:76], v[75:76], v[107:108], v[79:80]
	v_fma_f64 v[77:78], v[77:78], v[107:108], -v[81:82]
	global_load_b128 v[79:82], v[33:34], off
	global_load_b128 v[91:94], v152, s[8:9] offset:36288
	v_mad_co_u64_u32 v[33:34], null, 0xffff7c60, s12, v[33:34]
	v_dual_mov_b32 v110, v106 :: v_dual_mov_b32 v109, v105
	global_load_b128 v[135:138], v152, s[8:9] offset:37584
	s_clause 0x1
	scratch_store_b128 off, v[131:134], off offset:424
	scratch_store_b128 off, v[123:126], off offset:440
	v_dual_mov_b32 v108, v104 :: v_dual_mov_b32 v107, v103
	scratch_store_b128 off, v[119:122], off offset:360 ; 16-byte Folded Spill
	v_add_nc_u32_e32 v34, s4, v34
	s_clause 0x2
	scratch_store_b128 off, v[115:118], off offset:328
	scratch_store_b128 off, v[99:102], off offset:344
	;; [unrolled: 1-line block ×3, first 2 shown]
	s_wait_loadcnt 0x1
	v_mul_f64_e32 v[83:84], v[81:82], v[93:94]
	v_mul_f64_e32 v[85:86], v[79:80], v[93:94]
	scratch_store_b128 off, v[91:94], off offset:280 ; 16-byte Folded Spill
	s_wait_loadcnt 0x0
	scratch_store_b128 off, v[135:138], off offset:456 ; 16-byte Folded Spill
	v_fma_f64 v[79:80], v[79:80], v[91:92], v[83:84]
	v_fma_f64 v[81:82], v[81:82], v[91:92], -v[85:86]
	global_load_b128 v[83:86], v[33:34], off
	v_dual_mov_b32 v94, v90 :: v_dual_mov_b32 v93, v89
	v_dual_mov_b32 v92, v88 :: v_dual_mov_b32 v91, v87
	v_add_co_u32 v33, vcc_lo, v33, s2
	s_wait_alu 0xfffd
	v_add_co_ci_u32_e32 v34, vcc_lo, s3, v34, vcc_lo
	scratch_store_b128 off, v[91:94], off offset:312 ; 16-byte Folded Spill
	s_wait_loadcnt 0x0
	v_mul_f64_e32 v[87:88], v[85:86], v[93:94]
	v_mul_f64_e32 v[89:90], v[83:84], v[93:94]
	s_delay_alu instid0(VALU_DEP_2) | instskip(NEXT) | instid1(VALU_DEP_2)
	v_fma_f64 v[83:84], v[83:84], v[91:92], v[87:88]
	v_fma_f64 v[85:86], v[85:86], v[91:92], -v[89:90]
	global_load_b128 v[87:90], v[33:34], off
	v_add_co_u32 v33, vcc_lo, v33, s2
	s_wait_alu 0xfffd
	v_add_co_ci_u32_e32 v34, vcc_lo, s3, v34, vcc_lo
	s_wait_loadcnt 0x0
	v_mul_f64_e32 v[91:92], v[89:90], v[117:118]
	v_mul_f64_e32 v[93:94], v[87:88], v[117:118]
	s_delay_alu instid0(VALU_DEP_2) | instskip(NEXT) | instid1(VALU_DEP_2)
	v_fma_f64 v[87:88], v[87:88], v[115:116], v[91:92]
	v_fma_f64 v[89:90], v[89:90], v[115:116], -v[93:94]
	global_load_b128 v[91:94], v[33:34], off
	v_add_co_u32 v33, vcc_lo, v33, s2
	v_dual_mov_b32 v118, v114 :: v_dual_mov_b32 v117, v113
	s_wait_alu 0xfffd
	v_add_co_ci_u32_e32 v34, vcc_lo, s3, v34, vcc_lo
	v_dual_mov_b32 v116, v112 :: v_dual_mov_b32 v115, v111
	s_clause 0x1
	scratch_store_b128 off, v[127:130], off offset:392
	scratch_store_b128 off, v[115:118], off offset:408
	s_wait_loadcnt 0x0
	v_mul_f64_e32 v[95:96], v[93:94], v[101:102]
	v_mul_f64_e32 v[97:98], v[91:92], v[101:102]
	s_delay_alu instid0(VALU_DEP_2) | instskip(NEXT) | instid1(VALU_DEP_2)
	v_fma_f64 v[91:92], v[91:92], v[99:100], v[95:96]
	v_fma_f64 v[93:94], v[93:94], v[99:100], -v[97:98]
	global_load_b128 v[95:98], v[33:34], off
	v_add_co_u32 v33, vcc_lo, v33, s2
	s_wait_alu 0xfffd
	v_add_co_ci_u32_e32 v34, vcc_lo, s3, v34, vcc_lo
	s_wait_loadcnt 0x0
	v_mul_f64_e32 v[99:100], v[97:98], v[121:122]
	v_mul_f64_e32 v[101:102], v[95:96], v[121:122]
	s_delay_alu instid0(VALU_DEP_2) | instskip(NEXT) | instid1(VALU_DEP_2)
	v_fma_f64 v[95:96], v[95:96], v[119:120], v[99:100]
	v_fma_f64 v[97:98], v[97:98], v[119:120], -v[101:102]
	global_load_b128 v[99:102], v[33:34], off
	v_add_co_u32 v33, vcc_lo, v33, s2
	s_wait_alu 0xfffd
	v_add_co_ci_u32_e32 v34, vcc_lo, s3, v34, vcc_lo
	;; [unrolled: 10-line block ×6, first 2 shown]
	s_wait_loadcnt 0x0
	v_mul_f64_e32 v[119:120], v[117:118], v[125:126]
	v_mul_f64_e32 v[121:122], v[115:116], v[125:126]
	s_delay_alu instid0(VALU_DEP_2) | instskip(NEXT) | instid1(VALU_DEP_2)
	v_fma_f64 v[115:116], v[115:116], v[123:124], v[119:120]
	v_fma_f64 v[117:118], v[117:118], v[123:124], -v[121:122]
	global_load_b128 v[119:122], v[33:34], off
	s_wait_loadcnt 0x0
	v_mul_f64_e32 v[33:34], v[121:122], v[137:138]
	v_mul_f64_e32 v[123:124], v[119:120], v[137:138]
	s_delay_alu instid0(VALU_DEP_2) | instskip(NEXT) | instid1(VALU_DEP_2)
	v_fma_f64 v[119:120], v[119:120], v[135:136], v[33:34]
	v_fma_f64 v[121:122], v[121:122], v[135:136], -v[123:124]
	ds_store_b128 v152, v[0:3]
	ds_store_b128 v152, v[4:7] offset:3888
	ds_store_b128 v152, v[12:15] offset:7776
	;; [unrolled: 1-line block ×29, first 2 shown]
	s_load_b128 s[4:7], s[6:7], 0x0
	global_wb scope:SCOPE_SE
	s_wait_storecnt_dscnt 0x0
	s_wait_kmcnt 0x0
	s_barrier_signal -1
	s_barrier_wait -1
	global_inv scope:SCOPE_SE
	ds_load_b128 v[4:7], v152 offset:7776
	ds_load_b128 v[0:3], v152
	ds_load_b128 v[8:11], v152 offset:1296
	ds_load_b128 v[12:15], v152 offset:9072
	;; [unrolled: 1-line block ×6, first 2 shown]
	s_wait_dscnt 0x6
	v_add_f64_e32 v[24:25], v[0:1], v[4:5]
	v_add_f64_e32 v[26:27], v[2:3], v[6:7]
	s_wait_dscnt 0x3
	v_add_f64_e32 v[198:199], v[4:5], v[16:17]
	s_wait_dscnt 0x1
	v_add_f64_e64 v[36:37], v[4:5], -v[40:41]
	v_add_f64_e64 v[28:29], v[40:41], -v[4:5]
	;; [unrolled: 1-line block ×4, first 2 shown]
	v_add_f64_e32 v[202:203], v[6:7], v[18:19]
	v_add_f64_e64 v[20:21], v[6:7], -v[18:19]
	v_add_f64_e64 v[38:39], v[6:7], -v[42:43]
	s_wait_dscnt 0x0
	v_add_f64_e64 v[70:71], v[14:15], -v[48:49]
	v_add_f64_e32 v[232:233], v[12:13], v[72:73]
	v_add_f64_e32 v[234:235], v[14:15], v[74:75]
	;; [unrolled: 1-line block ×4, first 2 shown]
	v_fma_f64 v[210:211], v[198:199], -0.5, v[0:1]
	scratch_store_b64 off, v[4:5], off offset:492 ; 8-byte Folded Spill
	ds_load_b128 v[4:7], v152 offset:23328
	ds_load_b128 v[56:59], v152 offset:24624
	v_fma_f64 v[208:209], v[202:203], -0.5, v[2:3]
	s_wait_dscnt 0x1
	v_add_f64_e32 v[138:139], v[40:41], v[4:5]
	v_add_f64_e32 v[206:207], v[42:43], v[6:7]
	v_add_f64_e64 v[212:213], v[42:43], -v[6:7]
	v_add_f64_e64 v[26:27], v[40:41], -v[4:5]
	;; [unrolled: 1-line block ×5, first 2 shown]
	s_wait_dscnt 0x0
	v_add_f64_e32 v[230:231], v[48:49], v[58:59]
	v_add_f64_e32 v[228:229], v[46:47], v[56:57]
	v_add_f64_e64 v[92:93], v[72:73], -v[56:57]
	v_add_f64_e64 v[94:95], v[74:75], -v[58:59]
	v_add_f64_e32 v[24:25], v[24:25], v[4:5]
	v_add_f64_e32 v[44:45], v[32:33], v[6:7]
	v_add_f64_e64 v[32:33], v[4:5], -v[16:17]
	v_fma_f64 v[198:199], v[206:207], -0.5, v[2:3]
	s_delay_alu instid0(VALU_DEP_4) | instskip(NEXT) | instid1(VALU_DEP_4)
	v_add_f64_e32 v[190:191], v[24:25], v[16:17]
	v_add_f64_e32 v[192:193], v[44:45], v[18:19]
	ds_load_b128 v[4:7], v152 offset:11664
	ds_load_b128 v[16:19], v152 offset:3888
	;; [unrolled: 1-line block ×8, first 2 shown]
	v_add_f64_e32 v[28:29], v[28:29], v[32:33]
	s_wait_dscnt 0x6
	v_add_f64_e32 v[44:45], v[16:17], v[4:5]
	v_add_f64_e32 v[54:55], v[18:19], v[6:7]
	s_wait_dscnt 0x3
	v_add_f64_e32 v[194:195], v[4:5], v[50:51]
	v_add_f64_e32 v[204:205], v[6:7], v[52:53]
	v_add_f64_e64 v[60:61], v[6:7], -v[52:53]
	s_wait_dscnt 0x1
	v_add_f64_e64 v[24:25], v[4:5], -v[64:65]
	v_add_f64_e64 v[104:105], v[64:65], -v[4:5]
	;; [unrolled: 1-line block ×5, first 2 shown]
	ds_load_b128 v[4:7], v152 offset:27216
	ds_load_b128 v[120:123], v152 offset:25920
	s_wait_dscnt 0x2
	v_add_f64_e64 v[96:97], v[98:99], -v[78:79]
	v_add_f64_e64 v[118:119], v[80:81], -v[100:101]
	v_add_f64_e32 v[254:255], v[80:81], v[84:85]
	v_add_f64_e32 v[252:253], v[78:79], v[82:83]
	s_wait_dscnt 0x1
	v_add_f64_e32 v[200:201], v[64:65], v[4:5]
	v_add_f64_e32 v[220:221], v[66:67], v[6:7]
	v_add_f64_e64 v[68:69], v[66:67], -v[6:7]
	v_add_f64_e64 v[168:169], v[50:51], -v[4:5]
	v_add_f64_e64 v[136:137], v[4:5], -v[50:51]
	v_add_f64_e64 v[170:171], v[52:53], -v[6:7]
	v_add_f64_e64 v[140:141], v[6:7], -v[52:53]
	s_wait_dscnt 0x0
	v_add_f64_e32 v[248:249], v[98:99], v[120:121]
	v_add_f64_e32 v[250:251], v[100:101], v[122:123]
	;; [unrolled: 1-line block ×4, first 2 shown]
	v_add_f64_e64 v[64:65], v[64:65], -v[4:5]
	v_add_f64_e64 v[66:67], v[12:13], -v[46:47]
	;; [unrolled: 1-line block ×4, first 2 shown]
	v_fma_f64 v[206:207], v[194:195], -0.5, v[16:17]
	v_fma_f64 v[204:205], v[204:205], -0.5, v[18:19]
	;; [unrolled: 1-line block ×5, first 2 shown]
	v_add_f64_e32 v[24:25], v[24:25], v[168:169]
	v_add_f64_e32 v[44:45], v[44:45], v[4:5]
	;; [unrolled: 1-line block ×5, first 2 shown]
	s_delay_alu instid0(VALU_DEP_4) | instskip(NEXT) | instid1(VALU_DEP_4)
	v_add_f64_e32 v[224:225], v[44:45], v[50:51]
	v_add_f64_e32 v[226:227], v[54:55], v[52:53]
	s_delay_alu instid0(VALU_DEP_4) | instskip(NEXT) | instid1(VALU_DEP_4)
	v_add_f64_e32 v[4:5], v[4:5], v[46:47]
	v_add_f64_e32 v[6:7], v[6:7], v[48:49]
	v_add_f64_e64 v[44:45], v[48:49], -v[58:59]
	v_add_f64_e64 v[52:53], v[46:47], -v[12:13]
	;; [unrolled: 1-line block ×6, first 2 shown]
	v_add_f64_e32 v[220:221], v[190:191], v[224:225]
	v_add_f64_e32 v[222:223], v[192:193], v[226:227]
	;; [unrolled: 1-line block ×4, first 2 shown]
	v_add_f64_e64 v[56:57], v[56:57], -v[72:73]
	v_add_f64_e64 v[58:59], v[58:59], -v[74:75]
	;; [unrolled: 1-line block ×4, first 2 shown]
	v_fma_f64 v[192:193], v[234:235], -0.5, v[10:11]
	v_fma_f64 v[234:235], v[254:255], -0.5, v[150:151]
	v_add_f64_e32 v[236:237], v[4:5], v[72:73]
	v_add_f64_e32 v[238:239], v[6:7], v[74:75]
	ds_load_b128 v[4:7], v152 offset:12960
	ds_load_b128 v[12:15], v152 offset:5184
	;; [unrolled: 1-line block ×8, first 2 shown]
	s_wait_dscnt 0x6
	v_add_f64_e32 v[76:77], v[12:13], v[4:5]
	v_add_f64_e32 v[86:87], v[14:15], v[6:7]
	s_wait_dscnt 0x3
	v_add_f64_e64 v[164:165], v[4:5], -v[72:73]
	s_wait_dscnt 0x1
	v_add_f64_e32 v[240:241], v[72:73], v[106:107]
	v_add_f64_e64 v[88:89], v[74:75], -v[108:109]
	v_add_f64_e64 v[130:131], v[72:73], -v[4:5]
	v_add_f64_e32 v[242:243], v[74:75], v[108:109]
	v_add_f64_e64 v[90:91], v[72:73], -v[106:107]
	v_add_f64_e64 v[166:167], v[6:7], -v[74:75]
	;; [unrolled: 1-line block ×6, first 2 shown]
	s_wait_dscnt 0x0
	v_add_f64_e32 v[134:135], v[160:161], v[180:181]
	v_add_f64_e32 v[34:35], v[162:163], v[182:183]
	v_add_f64_e32 v[76:77], v[76:77], v[72:73]
	v_add_f64_e32 v[86:87], v[86:87], v[74:75]
	ds_load_b128 v[72:75], v152 offset:36288
	ds_load_b128 v[184:187], v152 offset:37584
	global_wb scope:SCOPE_SE
	s_wait_storecnt_dscnt 0x0
	s_barrier_signal -1
	s_barrier_wait -1
	global_inv scope:SCOPE_SE
	v_fma_f64 v[242:243], v[242:243], -0.5, v[14:15]
	v_add_f64_e64 v[114:115], v[6:7], -v[74:75]
	v_add_f64_e32 v[244:245], v[4:5], v[72:73]
	v_add_f64_e64 v[112:113], v[4:5], -v[72:73]
	v_add_f64_e32 v[4:5], v[6:7], v[74:75]
	v_add_f64_e64 v[176:177], v[72:73], -v[106:107]
	v_add_f64_e64 v[172:173], v[106:107], -v[72:73]
	;; [unrolled: 1-line block ×4, first 2 shown]
	v_add_f64_e32 v[188:189], v[154:155], v[184:185]
	v_add_f64_e32 v[6:7], v[76:77], v[106:107]
	;; [unrolled: 1-line block ×3, first 2 shown]
	v_add_f64_e64 v[108:109], v[78:79], -v[98:99]
	v_add_f64_e64 v[106:107], v[160:161], -v[154:155]
	v_fma_f64 v[190:191], v[244:245], -0.5, v[12:13]
	v_fma_f64 v[232:233], v[4:5], -0.5, v[14:15]
	v_add_f64_e32 v[6:7], v[6:7], v[72:73]
	v_add_f64_e32 v[72:73], v[148:149], v[78:79]
	;; [unrolled: 1-line block ×3, first 2 shown]
	v_add_f64_e64 v[74:75], v[98:99], -v[120:121]
	v_add_f64_e64 v[76:77], v[80:81], -v[84:85]
	;; [unrolled: 1-line block ×4, first 2 shown]
	v_add_f64_e32 v[86:87], v[72:73], v[98:99]
	v_add_f64_e32 v[72:73], v[150:151], v[80:81]
	v_add_f64_e64 v[98:99], v[100:101], -v[80:81]
	s_delay_alu instid0(VALU_DEP_3) | instskip(NEXT) | instid1(VALU_DEP_3)
	v_add_f64_e32 v[80:81], v[86:87], v[120:121]
	v_add_f64_e32 v[102:103], v[72:73], v[100:101]
	v_add_f64_e64 v[72:73], v[100:101], -v[122:123]
	v_add_f64_e64 v[100:101], v[120:121], -v[82:83]
	s_delay_alu instid0(VALU_DEP_4) | instskip(SKIP_4) | instid1(VALU_DEP_4)
	v_add_f64_e32 v[120:121], v[80:81], v[82:83]
	v_add_f64_e32 v[80:81], v[216:217], v[154:155]
	;; [unrolled: 1-line block ×3, first 2 shown]
	v_add_f64_e64 v[102:103], v[122:123], -v[84:85]
	v_add_f64_e64 v[82:83], v[160:161], -v[180:181]
	v_add_f64_e32 v[124:125], v[80:81], v[160:161]
	v_add_f64_e32 v[80:81], v[218:219], v[156:157]
	;; [unrolled: 1-line block ×3, first 2 shown]
	v_add_f64_e64 v[86:87], v[156:157], -v[186:187]
	v_add_f64_e64 v[84:85], v[154:155], -v[184:185]
	v_add_f64_e32 v[153:154], v[156:157], v[186:187]
	v_add_f64_e64 v[160:161], v[184:185], -v[180:181]
	v_add_f64_e32 v[155:156], v[124:125], v[180:181]
	v_add_f64_e32 v[128:129], v[80:81], v[162:163]
	v_add_f64_e64 v[124:125], v[180:181], -v[184:185]
	v_add_f64_e64 v[80:81], v[162:163], -v[182:183]
	;; [unrolled: 1-line block ×3, first 2 shown]
	v_fma_f64 v[180:181], v[228:229], -0.5, v[8:9]
	v_fma_f64 v[228:229], v[250:251], -0.5, v[150:151]
	;; [unrolled: 1-line block ×3, first 2 shown]
	v_add_f64_e32 v[8:9], v[236:237], v[6:7]
	v_add_f64_e64 v[6:7], v[238:239], -v[246:247]
	v_add_f64_e32 v[155:156], v[155:156], v[184:185]
	v_add_f64_e32 v[196:197], v[128:129], v[182:183]
	v_add_f64_e64 v[128:129], v[182:183], -v[186:187]
	v_fma_f64 v[182:183], v[230:231], -0.5, v[10:11]
	v_fma_f64 v[230:231], v[248:249], -0.5, v[148:149]
	v_add_f64_e32 v[10:11], v[238:239], v[246:247]
	v_add_f64_e32 v[184:185], v[196:197], v[186:187]
	v_fma_f64 v[196:197], v[138:139], -0.5, v[0:1]
	v_fma_f64 v[138:139], v[134:135], -0.5, v[216:217]
	v_fma_f64 v[134:135], v[34:35], -0.5, v[218:219]
	v_mul_lo_u16 v34, v214, 10
	v_fma_f64 v[186:187], v[240:241], -0.5, v[12:13]
	v_fma_f64 v[240:241], v[252:253], -0.5, v[148:149]
	v_add_f64_e32 v[0:1], v[120:121], v[155:156]
	v_add_f64_e64 v[12:13], v[120:121], -v[155:156]
	v_dual_mov_b32 v253, v215 :: v_dual_and_b32 v34, 0xffff, v34
	v_fma_f64 v[148:149], v[153:154], -0.5, v[218:219]
	s_delay_alu instid0(VALU_DEP_2)
	v_lshlrev_b32_e32 v120, 4, v34
	ds_store_b128 v120, v[220:223]
	ds_store_b128 v120, v[16:19] offset:80
	v_add_f64_e32 v[16:17], v[36:37], v[40:41]
	v_fma_f64 v[36:37], v[60:61], s[20:21], v[202:203]
	scratch_load_b64 v[32:33], off, off offset:492 th:TH_LOAD_LU ; 8-byte Folded Reload
	v_add_f64_e32 v[18:19], v[38:39], v[42:43]
	v_fma_f64 v[38:39], v[62:63], s[22:23], v[200:201]
	v_add_f64_e32 v[34:35], v[158:159], v[170:171]
	v_fma_f64 v[42:43], v[22:23], s[22:23], v[198:199]
	scratch_store_b32 off, v120, off offset:488 ; 4-byte Folded Spill
	v_add_f64_e32 v[2:3], v[122:123], v[184:185]
	v_add_f64_e64 v[14:15], v[122:123], -v[184:185]
	v_fma_f64 v[36:37], v[68:69], s[14:15], v[36:37]
	v_fma_f64 v[38:39], v[64:65], s[16:17], v[38:39]
	;; [unrolled: 1-line block ×3, first 2 shown]
	s_delay_alu instid0(VALU_DEP_3) | instskip(NEXT) | instid1(VALU_DEP_3)
	v_fma_f64 v[36:37], v[24:25], s[18:19], v[36:37]
	v_fma_f64 v[38:39], v[34:35], s[18:19], v[38:39]
	s_delay_alu instid0(VALU_DEP_3) | instskip(NEXT) | instid1(VALU_DEP_3)
	v_fma_f64 v[42:43], v[18:19], s[18:19], v[42:43]
	v_mul_f64_e32 v[40:41], s[24:25], v[36:37]
	v_mul_f64_e32 v[36:37], s[16:17], v[36:37]
	s_delay_alu instid0(VALU_DEP_2) | instskip(NEXT) | instid1(VALU_DEP_2)
	v_fma_f64 v[40:41], v[38:39], s[14:15], v[40:41]
	v_fma_f64 v[36:37], v[38:39], s[24:25], v[36:37]
	;; [unrolled: 1-line block ×3, first 2 shown]
	s_delay_alu instid0(VALU_DEP_2) | instskip(NEXT) | instid1(VALU_DEP_2)
	v_add_f64_e32 v[170:171], v[42:43], v[36:37]
	v_fma_f64 v[38:39], v[212:213], s[14:15], v[38:39]
	v_add_f64_e64 v[218:219], v[42:43], -v[36:37]
	v_add_f64_e32 v[36:37], v[110:111], v[140:141]
	s_delay_alu instid0(VALU_DEP_3) | instskip(NEXT) | instid1(VALU_DEP_1)
	v_fma_f64 v[38:39], v[16:17], s[18:19], v[38:39]
	v_add_f64_e32 v[168:169], v[38:39], v[40:41]
	v_add_f64_e64 v[216:217], v[38:39], -v[40:41]
	v_fma_f64 v[38:39], v[64:65], s[20:21], v[204:205]
	v_fma_f64 v[40:41], v[68:69], s[22:23], v[206:207]
	s_delay_alu instid0(VALU_DEP_2) | instskip(NEXT) | instid1(VALU_DEP_2)
	v_fma_f64 v[38:39], v[62:63], s[16:17], v[38:39]
	v_fma_f64 v[40:41], v[60:61], s[14:15], v[40:41]
	s_wait_loadcnt 0x0
	v_add_f64_e32 v[30:31], v[32:33], v[30:31]
	v_add_f64_e32 v[32:33], v[104:105], v[136:137]
	v_fma_f64 v[104:105], v[26:27], s[20:21], v[208:209]
	v_fma_f64 v[38:39], v[36:37], s[18:19], v[38:39]
	s_delay_alu instid0(VALU_DEP_3) | instskip(NEXT) | instid1(VALU_DEP_3)
	v_fma_f64 v[40:41], v[32:33], s[18:19], v[40:41]
	v_fma_f64 v[104:105], v[22:23], s[16:17], v[104:105]
	s_delay_alu instid0(VALU_DEP_3) | instskip(NEXT) | instid1(VALU_DEP_2)
	v_mul_f64_e32 v[42:43], s[20:21], v[38:39]
	v_fma_f64 v[104:105], v[30:31], s[18:19], v[104:105]
	s_delay_alu instid0(VALU_DEP_2) | instskip(SKIP_1) | instid1(VALU_DEP_1)
	v_fma_f64 v[42:43], v[40:41], s[18:19], v[42:43]
	v_mul_f64_e32 v[40:41], s[22:23], v[40:41]
	v_fma_f64 v[38:39], v[38:39], s[18:19], v[40:41]
	v_fma_f64 v[40:41], v[212:213], s[22:23], v[210:211]
	s_delay_alu instid0(VALU_DEP_2) | instskip(SKIP_2) | instid1(VALU_DEP_4)
	v_add_f64_e32 v[222:223], v[104:105], v[38:39]
	v_add_f64_e64 v[226:227], v[104:105], -v[38:39]
	v_fma_f64 v[38:39], v[212:213], s[20:21], v[210:211]
	v_fma_f64 v[40:41], v[20:21], s[14:15], v[40:41]
	v_add_co_u32 v105, null, 0x195, v253
	s_delay_alu instid0(VALU_DEP_3) | instskip(NEXT) | instid1(VALU_DEP_3)
	v_fma_f64 v[38:39], v[20:21], s[16:17], v[38:39]
	v_fma_f64 v[40:41], v[28:29], s[18:19], v[40:41]
	v_fma_f64 v[20:21], v[20:21], s[22:23], v[196:197]
	s_delay_alu instid0(VALU_DEP_3) | instskip(SKIP_1) | instid1(VALU_DEP_3)
	v_fma_f64 v[28:29], v[28:29], s[18:19], v[38:39]
	v_fma_f64 v[38:39], v[26:27], s[22:23], v[208:209]
	v_fma_f64 v[20:21], v[212:213], s[16:17], v[20:21]
	v_add_f64_e32 v[220:221], v[40:41], v[42:43]
	v_add_f64_e64 v[224:225], v[40:41], -v[42:43]
	v_add_f64_e32 v[42:43], v[142:143], v[174:175]
	v_add_f64_e32 v[40:41], v[130:131], v[172:173]
	v_fma_f64 v[38:39], v[22:23], s[14:15], v[38:39]
	v_fma_f64 v[22:23], v[22:23], s[20:21], v[198:199]
	;; [unrolled: 1-line block ×3, first 2 shown]
	s_delay_alu instid0(VALU_DEP_3) | instskip(SKIP_1) | instid1(VALU_DEP_4)
	v_fma_f64 v[30:31], v[30:31], s[18:19], v[38:39]
	v_fma_f64 v[38:39], v[68:69], s[20:21], v[206:207]
	;; [unrolled: 1-line block ×3, first 2 shown]
	s_delay_alu instid0(VALU_DEP_2) | instskip(NEXT) | instid1(VALU_DEP_2)
	v_fma_f64 v[38:39], v[60:61], s[16:17], v[38:39]
	v_fma_f64 v[18:19], v[18:19], s[18:19], v[22:23]
	s_delay_alu instid0(VALU_DEP_2) | instskip(SKIP_1) | instid1(VALU_DEP_1)
	v_fma_f64 v[32:33], v[32:33], s[18:19], v[38:39]
	v_fma_f64 v[38:39], v[64:65], s[22:23], v[204:205]
	;; [unrolled: 1-line block ×3, first 2 shown]
	s_delay_alu instid0(VALU_DEP_1) | instskip(NEXT) | instid1(VALU_DEP_4)
	v_fma_f64 v[36:37], v[36:37], s[18:19], v[38:39]
	v_mul_f64_e32 v[38:39], s[26:27], v[32:33]
	s_delay_alu instid0(VALU_DEP_1) | instskip(SKIP_1) | instid1(VALU_DEP_2)
	v_fma_f64 v[38:39], v[36:37], s[20:21], v[38:39]
	v_mul_f64_e32 v[36:37], s[26:27], v[36:37]
	v_add_f64_e32 v[204:205], v[28:29], v[38:39]
	s_delay_alu instid0(VALU_DEP_2)
	v_fma_f64 v[32:33], v[32:33], s[22:23], v[36:37]
	v_add_f64_e64 v[208:209], v[28:29], -v[38:39]
	v_fma_f64 v[28:29], v[60:61], s[22:23], v[202:203]
	v_add_f64_e32 v[36:37], v[52:53], v[56:57]
	v_add_f64_e32 v[38:39], v[54:55], v[58:59]
	v_add_f64_e32 v[206:207], v[30:31], v[32:33]
	v_add_f64_e64 v[210:211], v[30:31], -v[32:33]
	v_fma_f64 v[30:31], v[62:63], s[20:21], v[200:201]
	v_fma_f64 v[28:29], v[68:69], s[16:17], v[28:29]
	v_add_f64_e32 v[32:33], v[164:165], v[176:177]
	v_add_f64_e32 v[68:69], v[106:107], v[124:125]
	v_and_b32_e32 v106, 0xffff, v105
	v_fma_f64 v[26:27], v[64:65], s[14:15], v[30:31]
	v_fma_f64 v[24:25], v[24:25], s[18:19], v[28:29]
	v_add_f64_e32 v[64:65], v[96:97], v[100:101]
	s_delay_alu instid0(VALU_DEP_3) | instskip(NEXT) | instid1(VALU_DEP_3)
	v_fma_f64 v[20:21], v[34:35], s[18:19], v[26:27]
	v_mul_f64_e32 v[22:23], s[28:29], v[24:25]
	v_add_f64_e32 v[34:35], v[166:167], v[178:179]
	v_add_f64_e32 v[26:27], v[70:71], v[94:95]
	;; [unrolled: 1-line block ×3, first 2 shown]
	s_delay_alu instid0(VALU_DEP_4) | instskip(SKIP_1) | instid1(VALU_DEP_2)
	v_fma_f64 v[22:23], v[20:21], s[14:15], v[22:23]
	v_mul_f64_e32 v[20:21], s[28:29], v[20:21]
	v_add_f64_e32 v[196:197], v[16:17], v[22:23]
	s_delay_alu instid0(VALU_DEP_2)
	v_fma_f64 v[20:21], v[24:25], s[16:17], v[20:21]
	v_add_f64_e64 v[200:201], v[16:17], -v[22:23]
	v_fma_f64 v[16:17], v[114:115], s[20:21], v[186:187]
	v_add_f64_e32 v[24:25], v[66:67], v[92:93]
	v_add_f64_e32 v[66:67], v[98:99], v[102:103]
	;; [unrolled: 1-line block ×3, first 2 shown]
	v_add_f64_e64 v[202:203], v[18:19], -v[20:21]
	v_fma_f64 v[16:17], v[88:89], s[14:15], v[16:17]
	v_fma_f64 v[18:19], v[112:113], s[22:23], v[242:243]
	ds_store_b128 v120, v[168:171] offset:16
	ds_store_b128 v120, v[220:223] offset:32
	;; [unrolled: 1-line block ×8, first 2 shown]
	v_fma_f64 v[16:17], v[32:33], s[18:19], v[16:17]
	v_fma_f64 v[18:19], v[90:91], s[16:17], v[18:19]
	s_delay_alu instid0(VALU_DEP_2) | instskip(NEXT) | instid1(VALU_DEP_2)
	v_mul_f64_e32 v[20:21], s[24:25], v[16:17]
	v_fma_f64 v[18:19], v[34:35], s[18:19], v[18:19]
	v_mul_f64_e32 v[16:17], s[16:17], v[16:17]
	s_delay_alu instid0(VALU_DEP_2) | instskip(NEXT) | instid1(VALU_DEP_2)
	v_fma_f64 v[28:29], v[18:19], s[14:15], v[20:21]
	v_fma_f64 v[18:19], v[18:19], s[24:25], v[16:17]
	;; [unrolled: 1-line block ×4, first 2 shown]
	s_delay_alu instid0(VALU_DEP_2) | instskip(NEXT) | instid1(VALU_DEP_2)
	v_fma_f64 v[16:17], v[44:45], s[14:15], v[16:17]
	v_fma_f64 v[20:21], v[46:47], s[16:17], v[20:21]
	s_delay_alu instid0(VALU_DEP_2) | instskip(NEXT) | instid1(VALU_DEP_2)
	v_fma_f64 v[16:17], v[24:25], s[18:19], v[16:17]
	v_fma_f64 v[30:31], v[26:27], s[18:19], v[20:21]
	s_delay_alu instid0(VALU_DEP_2) | instskip(SKIP_2) | instid1(VALU_DEP_4)
	v_add_f64_e32 v[20:21], v[16:17], v[28:29]
	v_add_f64_e64 v[16:17], v[16:17], -v[28:29]
	v_fma_f64 v[28:29], v[90:91], s[20:21], v[232:233]
	v_add_f64_e32 v[22:23], v[30:31], v[18:19]
	v_add_f64_e64 v[18:19], v[30:31], -v[18:19]
	v_fma_f64 v[30:31], v[88:89], s[22:23], v[190:191]
	s_delay_alu instid0(VALU_DEP_4) | instskip(NEXT) | instid1(VALU_DEP_2)
	v_fma_f64 v[28:29], v[112:113], s[16:17], v[28:29]
	v_fma_f64 v[30:31], v[114:115], s[14:15], v[30:31]
	s_delay_alu instid0(VALU_DEP_2) | instskip(NEXT) | instid1(VALU_DEP_2)
	v_fma_f64 v[28:29], v[42:43], s[18:19], v[28:29]
	v_fma_f64 v[30:31], v[40:41], s[18:19], v[30:31]
	s_delay_alu instid0(VALU_DEP_2) | instskip(NEXT) | instid1(VALU_DEP_1)
	v_mul_f64_e32 v[52:53], s[20:21], v[28:29]
	v_fma_f64 v[52:53], v[30:31], s[18:19], v[52:53]
	v_mul_f64_e32 v[30:31], s[22:23], v[30:31]
	s_delay_alu instid0(VALU_DEP_1) | instskip(SKIP_2) | instid1(VALU_DEP_2)
	v_fma_f64 v[54:55], v[28:29], s[18:19], v[30:31]
	v_fma_f64 v[28:29], v[44:45], s[22:23], v[194:195]
	;; [unrolled: 1-line block ×4, first 2 shown]
	s_delay_alu instid0(VALU_DEP_2) | instskip(NEXT) | instid1(VALU_DEP_2)
	v_fma_f64 v[30:31], v[50:51], s[16:17], v[30:31]
	v_fma_f64 v[56:57], v[36:37], s[18:19], v[28:29]
	s_delay_alu instid0(VALU_DEP_2) | instskip(NEXT) | instid1(VALU_DEP_2)
	v_fma_f64 v[58:59], v[38:39], s[18:19], v[30:31]
	v_add_f64_e32 v[28:29], v[56:57], v[52:53]
	v_add_f64_e64 v[92:93], v[56:57], -v[52:53]
	v_fma_f64 v[52:53], v[44:45], s[20:21], v[194:195]
	s_delay_alu instid0(VALU_DEP_4) | instskip(SKIP_1) | instid1(VALU_DEP_3)
	v_add_f64_e32 v[30:31], v[58:59], v[54:55]
	v_add_f64_e64 v[94:95], v[58:59], -v[54:55]
	v_fma_f64 v[52:53], v[48:49], s[16:17], v[52:53]
	s_delay_alu instid0(VALU_DEP_1) | instskip(SKIP_1) | instid1(VALU_DEP_1)
	v_fma_f64 v[52:53], v[36:37], s[18:19], v[52:53]
	v_fma_f64 v[36:37], v[46:47], s[22:23], v[192:193]
	;; [unrolled: 1-line block ×3, first 2 shown]
	s_delay_alu instid0(VALU_DEP_1) | instskip(SKIP_2) | instid1(VALU_DEP_2)
	v_fma_f64 v[54:55], v[38:39], s[18:19], v[36:37]
	v_fma_f64 v[36:37], v[88:89], s[20:21], v[190:191]
	;; [unrolled: 1-line block ×4, first 2 shown]
	s_delay_alu instid0(VALU_DEP_2) | instskip(NEXT) | instid1(VALU_DEP_2)
	v_fma_f64 v[38:39], v[112:113], s[14:15], v[38:39]
	v_fma_f64 v[36:37], v[40:41], s[18:19], v[36:37]
	s_delay_alu instid0(VALU_DEP_2) | instskip(NEXT) | instid1(VALU_DEP_2)
	v_fma_f64 v[38:39], v[42:43], s[18:19], v[38:39]
	v_mul_f64_e32 v[40:41], s[26:27], v[36:37]
	s_delay_alu instid0(VALU_DEP_1) | instskip(SKIP_1) | instid1(VALU_DEP_2)
	v_fma_f64 v[40:41], v[38:39], s[20:21], v[40:41]
	v_mul_f64_e32 v[38:39], s[26:27], v[38:39]
	v_add_f64_e64 v[140:141], v[52:53], -v[40:41]
	s_delay_alu instid0(VALU_DEP_2) | instskip(SKIP_2) | instid1(VALU_DEP_3)
	v_fma_f64 v[42:43], v[36:37], s[22:23], v[38:39]
	v_add_f64_e32 v[36:37], v[52:53], v[40:41]
	v_fma_f64 v[40:41], v[114:115], s[22:23], v[186:187]
	v_add_f64_e32 v[38:39], v[54:55], v[42:43]
	v_add_f64_e64 v[142:143], v[54:55], -v[42:43]
	v_fma_f64 v[42:43], v[48:49], s[22:23], v[180:181]
	v_fma_f64 v[48:49], v[50:51], s[20:21], v[182:183]
	;; [unrolled: 1-line block ×4, first 2 shown]
	s_delay_alu instid0(VALU_DEP_4) | instskip(NEXT) | instid1(VALU_DEP_4)
	v_fma_f64 v[42:43], v[44:45], s[16:17], v[42:43]
	v_fma_f64 v[44:45], v[46:47], s[14:15], v[48:49]
	s_delay_alu instid0(VALU_DEP_4) | instskip(NEXT) | instid1(VALU_DEP_4)
	v_fma_f64 v[46:47], v[90:91], s[14:15], v[50:51]
	v_fma_f64 v[32:33], v[32:33], s[18:19], v[40:41]
	;; [unrolled: 1-line block ×7, first 2 shown]
	v_mul_f64_e32 v[40:41], s[28:29], v[32:33]
	v_fma_f64 v[48:49], v[80:81], s[14:15], v[48:49]
	v_fma_f64 v[50:51], v[82:83], s[16:17], v[50:51]
	s_delay_alu instid0(VALU_DEP_3) | instskip(SKIP_1) | instid1(VALU_DEP_2)
	v_fma_f64 v[40:41], v[34:35], s[14:15], v[40:41]
	v_mul_f64_e32 v[34:35], s[28:29], v[34:35]
	v_add_f64_e32 v[44:45], v[24:25], v[40:41]
	s_delay_alu instid0(VALU_DEP_2) | instskip(SKIP_3) | instid1(VALU_DEP_4)
	v_fma_f64 v[32:33], v[32:33], s[16:17], v[34:35]
	v_add_f64_e32 v[34:35], v[146:147], v[162:163]
	v_add_f64_e64 v[40:41], v[24:25], -v[40:41]
	v_add_f64_e32 v[24:25], v[108:109], v[126:127]
	v_add_f64_e32 v[46:47], v[26:27], v[32:33]
	v_add_f64_e64 v[42:43], v[26:27], -v[32:33]
	v_add_f64_e32 v[32:33], v[144:145], v[160:161]
	v_fma_f64 v[50:51], v[34:35], s[18:19], v[50:51]
	v_add_f64_e32 v[26:27], v[118:119], v[132:133]
	s_delay_alu instid0(VALU_DEP_3) | instskip(NEXT) | instid1(VALU_DEP_1)
	v_fma_f64 v[48:49], v[32:33], s[18:19], v[48:49]
	v_mul_f64_e32 v[52:53], s[24:25], v[48:49]
	v_mul_f64_e32 v[48:49], s[16:17], v[48:49]
	s_delay_alu instid0(VALU_DEP_2) | instskip(NEXT) | instid1(VALU_DEP_2)
	v_fma_f64 v[56:57], v[50:51], s[14:15], v[52:53]
	v_fma_f64 v[50:51], v[50:51], s[24:25], v[48:49]
	;; [unrolled: 1-line block ×4, first 2 shown]
	s_delay_alu instid0(VALU_DEP_2) | instskip(NEXT) | instid1(VALU_DEP_2)
	v_fma_f64 v[48:49], v[72:73], s[14:15], v[48:49]
	v_fma_f64 v[52:53], v[74:75], s[16:17], v[52:53]
	s_delay_alu instid0(VALU_DEP_2) | instskip(NEXT) | instid1(VALU_DEP_2)
	v_fma_f64 v[48:49], v[24:25], s[18:19], v[48:49]
	v_fma_f64 v[58:59], v[26:27], s[18:19], v[52:53]
	s_delay_alu instid0(VALU_DEP_2) | instskip(SKIP_2) | instid1(VALU_DEP_4)
	v_add_f64_e32 v[52:53], v[48:49], v[56:57]
	v_add_f64_e64 v[48:49], v[48:49], -v[56:57]
	v_fma_f64 v[56:57], v[82:83], s[20:21], v[148:149]
	v_add_f64_e32 v[54:55], v[58:59], v[50:51]
	v_add_f64_e64 v[50:51], v[58:59], -v[50:51]
	v_fma_f64 v[58:59], v[80:81], s[22:23], v[150:151]
	s_delay_alu instid0(VALU_DEP_4) | instskip(NEXT) | instid1(VALU_DEP_2)
	v_fma_f64 v[56:57], v[84:85], s[16:17], v[56:57]
	v_fma_f64 v[58:59], v[86:87], s[14:15], v[58:59]
	s_delay_alu instid0(VALU_DEP_2) | instskip(NEXT) | instid1(VALU_DEP_2)
	v_fma_f64 v[56:57], v[70:71], s[18:19], v[56:57]
	v_fma_f64 v[58:59], v[68:69], s[18:19], v[58:59]
	s_delay_alu instid0(VALU_DEP_2) | instskip(NEXT) | instid1(VALU_DEP_1)
	v_mul_f64_e32 v[60:61], s[20:21], v[56:57]
	v_fma_f64 v[88:89], v[58:59], s[18:19], v[60:61]
	v_mul_f64_e32 v[58:59], s[22:23], v[58:59]
	v_fma_f64 v[60:61], v[74:75], s[20:21], v[234:235]
	s_delay_alu instid0(VALU_DEP_2) | instskip(SKIP_1) | instid1(VALU_DEP_3)
	v_fma_f64 v[58:59], v[56:57], s[18:19], v[58:59]
	v_fma_f64 v[56:57], v[72:73], s[22:23], v[240:241]
	;; [unrolled: 1-line block ×3, first 2 shown]
	s_delay_alu instid0(VALU_DEP_2) | instskip(NEXT) | instid1(VALU_DEP_2)
	v_fma_f64 v[56:57], v[76:77], s[14:15], v[56:57]
	v_fma_f64 v[90:91], v[66:67], s[18:19], v[60:61]
	s_delay_alu instid0(VALU_DEP_2) | instskip(NEXT) | instid1(VALU_DEP_2)
	v_fma_f64 v[56:57], v[64:65], s[18:19], v[56:57]
	v_add_f64_e32 v[62:63], v[90:91], v[58:59]
	v_add_f64_e64 v[58:59], v[90:91], -v[58:59]
	s_delay_alu instid0(VALU_DEP_3) | instskip(SKIP_2) | instid1(VALU_DEP_1)
	v_add_f64_e32 v[60:61], v[56:57], v[88:89]
	v_add_f64_e64 v[56:57], v[56:57], -v[88:89]
	v_fma_f64 v[88:89], v[72:73], s[20:21], v[240:241]
	v_fma_f64 v[88:89], v[76:77], s[16:17], v[88:89]
	s_delay_alu instid0(VALU_DEP_1) | instskip(SKIP_1) | instid1(VALU_DEP_1)
	v_fma_f64 v[64:65], v[64:65], s[18:19], v[88:89]
	v_fma_f64 v[88:89], v[74:75], s[22:23], v[234:235]
	v_fma_f64 v[88:89], v[78:79], s[14:15], v[88:89]
	s_delay_alu instid0(VALU_DEP_1) | instskip(SKIP_1) | instid1(VALU_DEP_1)
	v_fma_f64 v[66:67], v[66:67], s[18:19], v[88:89]
	;; [unrolled: 4-line block ×3, first 2 shown]
	v_fma_f64 v[88:89], v[82:83], s[22:23], v[148:149]
	v_fma_f64 v[88:89], v[84:85], s[14:15], v[88:89]
	s_delay_alu instid0(VALU_DEP_1) | instskip(NEXT) | instid1(VALU_DEP_4)
	v_fma_f64 v[70:71], v[70:71], s[18:19], v[88:89]
	v_mul_f64_e32 v[88:89], s[26:27], v[68:69]
	s_delay_alu instid0(VALU_DEP_1) | instskip(SKIP_1) | instid1(VALU_DEP_2)
	v_fma_f64 v[88:89], v[70:71], s[20:21], v[88:89]
	v_mul_f64_e32 v[70:71], s[26:27], v[70:71]
	v_add_f64_e32 v[97:98], v[64:65], v[88:89]
	s_delay_alu instid0(VALU_DEP_2)
	v_fma_f64 v[68:69], v[68:69], s[22:23], v[70:71]
	v_fma_f64 v[70:71], v[76:77], s[22:23], v[230:231]
	;; [unrolled: 1-line block ×4, first 2 shown]
	v_add_f64_e64 v[64:65], v[64:65], -v[88:89]
	v_add_f64_e32 v[99:100], v[66:67], v[68:69]
	v_add_f64_e64 v[66:67], v[66:67], -v[68:69]
	v_fma_f64 v[68:69], v[86:87], s[22:23], v[138:139]
	v_fma_f64 v[70:71], v[72:73], s[16:17], v[70:71]
	;; [unrolled: 1-line block ×4, first 2 shown]
	s_delay_alu instid0(VALU_DEP_4) | instskip(NEXT) | instid1(VALU_DEP_4)
	v_fma_f64 v[68:69], v[80:81], s[16:17], v[68:69]
	v_fma_f64 v[24:25], v[24:25], s[18:19], v[70:71]
	s_delay_alu instid0(VALU_DEP_4) | instskip(NEXT) | instid1(VALU_DEP_4)
	v_fma_f64 v[26:27], v[26:27], s[18:19], v[72:73]
	v_fma_f64 v[34:35], v[34:35], s[18:19], v[74:75]
	v_add_co_u32 v71, null, 0xa2, v253
	v_add_co_u32 v70, null, 0x144, v253
	v_fma_f64 v[32:33], v[32:33], s[18:19], v[68:69]
	s_delay_alu instid0(VALU_DEP_1) | instskip(NEXT) | instid1(VALU_DEP_1)
	v_mul_f64_e32 v[68:69], s[28:29], v[32:33]
	v_fma_f64 v[68:69], v[34:35], s[14:15], v[68:69]
	v_mul_f64_e32 v[34:35], s[28:29], v[34:35]
	s_delay_alu instid0(VALU_DEP_2) | instskip(NEXT) | instid1(VALU_DEP_2)
	v_add_f64_e32 v[72:73], v[24:25], v[68:69]
	v_fma_f64 v[34:35], v[32:33], s[16:17], v[34:35]
	v_add_f64_e64 v[32:33], v[24:25], -v[68:69]
	v_add_co_u32 v25, s2, 0x51, v215
	s_wait_alu 0xf1ff
	v_add_co_ci_u32_e64 v107, null, 0, 0, s2
	v_add_co_u32 v89, s2, 0xf3, v253
	s_delay_alu instid0(VALU_DEP_3) | instskip(SKIP_1) | instid1(VALU_DEP_1)
	v_mov_b32_e32 v223, v25
	v_mul_u32_u24_e32 v24, 10, v25
	v_lshlrev_b32_e32 v24, 4, v24
	scratch_store_b32 off, v24, off offset:1428 ; 4-byte Folded Spill
	ds_store_b128 v24, v[8:11]
	ds_store_b128 v24, v[20:23] offset:16
	ds_store_b128 v24, v[28:31] offset:32
	;; [unrolled: 1-line block ×9, first 2 shown]
	v_mul_u32_u24_e32 v4, 10, v71
	v_and_b32_e32 v40, 0xff, v214
	v_and_b32_e32 v37, 0xff, v71
	;; [unrolled: 1-line block ×3, first 2 shown]
	s_delay_alu instid0(VALU_DEP_4)
	v_lshlrev_b32_e32 v4, 4, v4
	scratch_store_b32 off, v4, off offset:1392 ; 4-byte Folded Spill
	v_add_f64_e32 v[74:75], v[26:27], v[34:35]
	v_add_f64_e64 v[34:35], v[26:27], -v[34:35]
	ds_store_b128 v4, v[0:3]
	ds_store_b128 v4, v[52:55] offset:16
	ds_store_b128 v4, v[60:63] offset:32
	;; [unrolled: 1-line block ×9, first 2 shown]
	v_mul_lo_u16 v0, 0xcd, v40
	global_wb scope:SCOPE_SE
	s_wait_storecnt_dscnt 0x0
	s_barrier_signal -1
	s_barrier_wait -1
	global_inv scope:SCOPE_SE
	v_lshrrev_b16 v42, 11, v0
	s_delay_alu instid0(VALU_DEP_1) | instskip(NEXT) | instid1(VALU_DEP_1)
	v_mul_lo_u16 v0, v42, 10
	v_sub_nc_u16 v0, v214, v0
	s_delay_alu instid0(VALU_DEP_1) | instskip(NEXT) | instid1(VALU_DEP_1)
	v_dual_mov_b32 v204, v214 :: v_dual_and_b32 v43, 0xff, v0
	v_cmp_gt_u16_e64 vcc_lo, 9, v204
	v_and_b32_e32 v41, 0xff, v25
	s_delay_alu instid0(VALU_DEP_3)
	v_lshlrev_b32_e32 v0, 5, v43
	s_clause 0x1
	global_load_b128 v[10:13], v0, s[10:11]
	global_load_b128 v[18:21], v0, s[10:11] offset:16
	s_wait_loadcnt 0x1
	scratch_store_b128 off, v[10:13], off offset:1184 ; 16-byte Folded Spill
	s_wait_loadcnt 0x0
	scratch_store_b128 off, v[18:21], off offset:1152 ; 16-byte Folded Spill
	ds_load_b128 v[0:3], v152 offset:12960
	ds_load_b128 v[4:7], v152 offset:14256
	s_wait_dscnt 0x1
	v_mul_f64_e32 v[8:9], v[2:3], v[12:13]
	s_delay_alu instid0(VALU_DEP_1) | instskip(SKIP_1) | instid1(VALU_DEP_1)
	v_fma_f64 v[8:9], v[0:1], v[10:11], -v[8:9]
	v_mul_f64_e32 v[0:1], v[0:1], v[12:13]
	v_fma_f64 v[12:13], v[2:3], v[10:11], v[0:1]
	ds_load_b128 v[0:3], v152 offset:25920
	ds_load_b128 v[28:31], v152 offset:27216
	s_wait_dscnt 0x1
	v_mul_f64_e32 v[10:11], v[2:3], v[20:21]
	s_delay_alu instid0(VALU_DEP_1) | instskip(SKIP_1) | instid1(VALU_DEP_1)
	v_fma_f64 v[16:17], v[0:1], v[18:19], -v[10:11]
	v_mul_f64_e32 v[0:1], v[0:1], v[20:21]
	v_fma_f64 v[22:23], v[2:3], v[18:19], v[0:1]
	v_mul_lo_u16 v0, 0xcd, v41
	s_delay_alu instid0(VALU_DEP_1) | instskip(NEXT) | instid1(VALU_DEP_1)
	v_lshrrev_b16 v44, 11, v0
	v_mul_lo_u16 v0, v44, 10
	s_delay_alu instid0(VALU_DEP_1) | instskip(NEXT) | instid1(VALU_DEP_1)
	v_sub_nc_u16 v0, v25, v0
	v_and_b32_e32 v45, 0xff, v0
	s_delay_alu instid0(VALU_DEP_1)
	v_lshlrev_b32_e32 v0, 5, v45
	s_clause 0x1
	global_load_b128 v[18:21], v0, s[10:11]
	global_load_b128 v[24:27], v0, s[10:11] offset:16
	s_wait_loadcnt 0x1
	v_mul_f64_e32 v[0:1], v[6:7], v[20:21]
	scratch_store_b128 off, v[18:21], off offset:1216 ; 16-byte Folded Spill
	v_fma_f64 v[10:11], v[4:5], v[18:19], -v[0:1]
	v_mul_f64_e32 v[0:1], v[4:5], v[20:21]
	s_delay_alu instid0(VALU_DEP_1) | instskip(SKIP_2) | instid1(VALU_DEP_1)
	v_fma_f64 v[20:21], v[6:7], v[18:19], v[0:1]
	s_wait_loadcnt_dscnt 0x0
	v_mul_f64_e32 v[0:1], v[30:31], v[26:27]
	v_fma_f64 v[18:19], v[28:29], v[24:25], -v[0:1]
	v_mul_f64_e32 v[0:1], v[28:29], v[26:27]
	s_delay_alu instid0(VALU_DEP_1) | instskip(SKIP_1) | instid1(VALU_DEP_1)
	v_fma_f64 v[32:33], v[30:31], v[24:25], v[0:1]
	v_mul_lo_u16 v0, 0xcd, v37
	v_lshrrev_b16 v46, 11, v0
	s_delay_alu instid0(VALU_DEP_1) | instskip(NEXT) | instid1(VALU_DEP_1)
	v_mul_lo_u16 v0, v46, 10
	v_sub_nc_u16 v0, v71, v0
	s_delay_alu instid0(VALU_DEP_1) | instskip(NEXT) | instid1(VALU_DEP_1)
	v_and_b32_e32 v47, 0xff, v0
	v_lshlrev_b32_e32 v0, 5, v47
	s_clause 0x1
	global_load_b128 v[28:31], v0, s[10:11]
	global_load_b128 v[52:55], v0, s[10:11] offset:16
	scratch_store_b128 off, v[24:27], off offset:1232 ; 16-byte Folded Spill
	v_add_co_u32 v27, null, 0x237, v253
	v_add_co_u32 v26, null, 0x288, v253
	s_delay_alu instid0(VALU_DEP_2) | instskip(NEXT) | instid1(VALU_DEP_2)
	v_and_b32_e32 v96, 0xffff, v27
	v_and_b32_e32 v95, 0xffff, v26
	s_wait_loadcnt 0x1
	scratch_store_b128 off, v[28:31], off offset:1200 ; 16-byte Folded Spill
	ds_load_b128 v[4:7], v152 offset:15552
	ds_load_b128 v[0:3], v152 offset:16848
	s_wait_dscnt 0x1
	v_mul_f64_e32 v[14:15], v[6:7], v[30:31]
	s_delay_alu instid0(VALU_DEP_1) | instskip(SKIP_1) | instid1(VALU_DEP_1)
	v_fma_f64 v[14:15], v[4:5], v[28:29], -v[14:15]
	v_mul_f64_e32 v[4:5], v[4:5], v[30:31]
	v_fma_f64 v[132:133], v[6:7], v[28:29], v[4:5]
	ds_load_b128 v[48:51], v152 offset:28512
	ds_load_b128 v[4:7], v152 offset:29808
	s_wait_loadcnt_dscnt 0x1
	v_mul_f64_e32 v[24:25], v[50:51], v[54:55]
	s_delay_alu instid0(VALU_DEP_1) | instskip(SKIP_1) | instid1(VALU_DEP_1)
	v_fma_f64 v[28:29], v[48:49], v[52:53], -v[24:25]
	v_mul_f64_e32 v[24:25], v[48:49], v[54:55]
	v_fma_f64 v[30:31], v[50:51], v[52:53], v[24:25]
	s_wait_alu 0xf1ff
	v_add_co_ci_u32_e64 v24, null, 0, 0, s2
	scratch_store_b128 off, v[52:55], off offset:1168 ; 16-byte Folded Spill
	v_and_b32_e32 v53, 0xffff, v89
	v_add_co_u32 v52, null, 0x2d9, v253
	scratch_store_b32 off, v24, off offset:492 ; 4-byte Folded Spill
	s_mov_b32 s2, 0xe8584caa
	v_mul_u32_u24_e32 v24, 0xcccd, v53
	s_mov_b32 s3, 0x3febb67a
	s_wait_alu 0xfffe
	s_mov_b32 s12, s2
	s_delay_alu instid0(VALU_DEP_1) | instskip(NEXT) | instid1(VALU_DEP_1)
	v_lshrrev_b32_e32 v153, 19, v24
	v_mul_lo_u16 v24, v153, 10
	s_delay_alu instid0(VALU_DEP_1) | instskip(NEXT) | instid1(VALU_DEP_1)
	v_sub_nc_u16 v154, v89, v24
	v_lshlrev_b16 v24, 1, v154
	s_delay_alu instid0(VALU_DEP_1) | instskip(NEXT) | instid1(VALU_DEP_1)
	v_and_b32_e32 v24, 0xffff, v24
	v_lshlrev_b32_e32 v24, 4, v24
	s_clause 0x1
	global_load_b128 v[54:57], v24, s[10:11]
	global_load_b128 v[48:51], v24, s[10:11] offset:16
	s_wait_loadcnt 0x1
	v_mul_f64_e32 v[24:25], v[2:3], v[56:57]
	scratch_store_b128 off, v[54:57], off offset:1736 ; 16-byte Folded Spill
	v_fma_f64 v[34:35], v[0:1], v[54:55], -v[24:25]
	v_mul_f64_e32 v[0:1], v[0:1], v[56:57]
	s_delay_alu instid0(VALU_DEP_1) | instskip(SKIP_2) | instid1(VALU_DEP_1)
	v_fma_f64 v[38:39], v[2:3], v[54:55], v[0:1]
	s_wait_loadcnt_dscnt 0x0
	v_mul_f64_e32 v[0:1], v[6:7], v[50:51]
	v_fma_f64 v[66:67], v[4:5], v[48:49], -v[0:1]
	v_mul_f64_e32 v[0:1], v[4:5], v[50:51]
	s_delay_alu instid0(VALU_DEP_1) | instskip(SKIP_1) | instid1(VALU_DEP_1)
	v_fma_f64 v[5:6], v[6:7], v[48:49], v[0:1]
	v_mul_u32_u24_e32 v0, 0xcccd, v36
	v_lshrrev_b32_e32 v155, 19, v0
	s_delay_alu instid0(VALU_DEP_1) | instskip(NEXT) | instid1(VALU_DEP_1)
	v_mul_lo_u16 v0, v155, 10
	v_sub_nc_u16 v213, v70, v0
	s_delay_alu instid0(VALU_DEP_1) | instskip(NEXT) | instid1(VALU_DEP_1)
	v_lshlrev_b16 v0, 1, v213
	v_and_b32_e32 v0, 0xffff, v0
	s_delay_alu instid0(VALU_DEP_1)
	v_lshlrev_b32_e32 v0, 4, v0
	s_clause 0x1
	global_load_b128 v[54:57], v0, s[10:11]
	global_load_b128 v[58:61], v0, s[10:11] offset:16
	scratch_store_b128 off, v[48:51], off offset:1720 ; 16-byte Folded Spill
	s_wait_loadcnt 0x1
	scratch_store_b128 off, v[54:57], off offset:1752 ; 16-byte Folded Spill
	s_wait_loadcnt 0x0
	scratch_store_b128 off, v[58:61], off offset:1704 ; 16-byte Folded Spill
	ds_load_b128 v[1:4], v152 offset:18144
	ds_load_b128 v[48:51], v152 offset:19440
	s_wait_dscnt 0x1
	v_mul_f64_e32 v[24:25], v[3:4], v[56:57]
	s_delay_alu instid0(VALU_DEP_1) | instskip(SKIP_1) | instid1(VALU_DEP_1)
	v_fma_f64 v[68:69], v[1:2], v[54:55], -v[24:25]
	v_mul_f64_e32 v[0:1], v[1:2], v[56:57]
	v_fma_f64 v[72:73], v[3:4], v[54:55], v[0:1]
	ds_load_b128 v[1:4], v152 offset:31104
	ds_load_b128 v[54:57], v152 offset:32400
	s_wait_dscnt 0x1
	v_mul_f64_e32 v[24:25], v[3:4], v[60:61]
	s_delay_alu instid0(VALU_DEP_1) | instskip(SKIP_3) | instid1(VALU_DEP_2)
	v_fma_f64 v[74:75], v[1:2], v[58:59], -v[24:25]
	v_mul_f64_e32 v[0:1], v[1:2], v[60:61]
	v_mul_u32_u24_e32 v2, 0xcccd, v106
	v_add_co_u32 v25, null, 0x1e6, v253
	v_lshrrev_b32_e32 v24, 19, v2
	s_delay_alu instid0(VALU_DEP_2) | instskip(NEXT) | instid1(VALU_DEP_2)
	v_and_b32_e32 v80, 0xffff, v25
	v_mul_lo_u16 v2, v24, 10
	s_delay_alu instid0(VALU_DEP_1) | instskip(NEXT) | instid1(VALU_DEP_1)
	v_sub_nc_u16 v214, v105, v2
	v_lshlrev_b16 v2, 1, v214
	s_delay_alu instid0(VALU_DEP_1) | instskip(NEXT) | instid1(VALU_DEP_1)
	v_and_b32_e32 v2, 0xffff, v2
	v_lshlrev_b32_e32 v2, 4, v2
	global_load_b128 v[62:65], v2, s[10:11]
	v_fma_f64 v[0:1], v[3:4], v[58:59], v[0:1]
	global_load_b128 v[58:61], v2, s[10:11] offset:16
	s_wait_loadcnt 0x1
	v_mul_f64_e32 v[2:3], v[50:51], v[64:65]
	s_delay_alu instid0(VALU_DEP_1) | instskip(SKIP_1) | instid1(VALU_DEP_1)
	v_fma_f64 v[76:77], v[48:49], v[62:63], -v[2:3]
	v_mul_f64_e32 v[2:3], v[48:49], v[64:65]
	v_fma_f64 v[48:49], v[50:51], v[62:63], v[2:3]
	s_wait_loadcnt_dscnt 0x0
	v_mul_f64_e32 v[2:3], v[56:57], v[60:61]
	s_delay_alu instid0(VALU_DEP_1) | instskip(SKIP_1) | instid1(VALU_DEP_1)
	v_fma_f64 v[50:51], v[54:55], v[58:59], -v[2:3]
	v_mul_f64_e32 v[2:3], v[54:55], v[60:61]
	v_fma_f64 v[78:79], v[56:57], v[58:59], v[2:3]
	v_mul_u32_u24_e32 v2, 0xcccd, v80
	s_delay_alu instid0(VALU_DEP_1) | instskip(NEXT) | instid1(VALU_DEP_1)
	v_lshrrev_b32_e32 v215, 19, v2
	v_mul_lo_u16 v2, v215, 10
	s_delay_alu instid0(VALU_DEP_1) | instskip(NEXT) | instid1(VALU_DEP_1)
	v_sub_nc_u16 v216, v25, v2
	v_lshlrev_b16 v2, 1, v216
	s_delay_alu instid0(VALU_DEP_1) | instskip(NEXT) | instid1(VALU_DEP_1)
	v_and_b32_e32 v2, 0xffff, v2
	v_lshlrev_b32_e32 v2, 4, v2
	global_load_b128 v[90:93], v2, s[10:11] offset:16
	scratch_store_b128 off, v[62:65], off offset:1784 ; 16-byte Folded Spill
	global_load_b128 v[62:65], v2, s[10:11]
	scratch_store_b128 off, v[58:61], off offset:1800 ; 16-byte Folded Spill
	s_wait_loadcnt 0x1
	scratch_store_b128 off, v[90:93], off offset:1768 ; 16-byte Folded Spill
	s_wait_loadcnt 0x0
	scratch_store_b128 off, v[62:65], off offset:1816 ; 16-byte Folded Spill
	ds_load_b128 v[54:57], v152 offset:20736
	ds_load_b128 v[58:61], v152 offset:22032
	s_wait_dscnt 0x1
	v_mul_f64_e32 v[2:3], v[56:57], v[64:65]
	s_delay_alu instid0(VALU_DEP_1) | instskip(SKIP_1) | instid1(VALU_DEP_1)
	v_fma_f64 v[81:82], v[54:55], v[62:63], -v[2:3]
	v_mul_f64_e32 v[2:3], v[54:55], v[64:65]
	v_fma_f64 v[83:84], v[56:57], v[62:63], v[2:3]
	ds_load_b128 v[54:57], v152 offset:33696
	ds_load_b128 v[62:65], v152 offset:34992
	s_wait_dscnt 0x1
	v_mul_f64_e32 v[2:3], v[56:57], v[92:93]
	s_delay_alu instid0(VALU_DEP_1) | instskip(SKIP_1) | instid1(VALU_DEP_1)
	v_fma_f64 v[85:86], v[54:55], v[90:91], -v[2:3]
	v_mul_f64_e32 v[2:3], v[54:55], v[92:93]
	v_fma_f64 v[87:88], v[56:57], v[90:91], v[2:3]
	v_mul_u32_u24_e32 v2, 0xcccd, v96
	v_and_b32_e32 v90, 0xffff, v52
	s_delay_alu instid0(VALU_DEP_2) | instskip(NEXT) | instid1(VALU_DEP_1)
	v_lshrrev_b32_e32 v217, 19, v2
	v_mul_lo_u16 v2, v217, 10
	s_delay_alu instid0(VALU_DEP_1) | instskip(NEXT) | instid1(VALU_DEP_1)
	v_sub_nc_u16 v218, v27, v2
	v_lshlrev_b16 v2, 1, v218
	s_delay_alu instid0(VALU_DEP_1) | instskip(NEXT) | instid1(VALU_DEP_1)
	v_and_b32_e32 v2, 0xffff, v2
	v_lshlrev_b32_e32 v2, 4, v2
	s_clause 0x1
	global_load_b128 v[97:100], v2, s[10:11]
	global_load_b128 v[54:57], v2, s[10:11] offset:16
	s_wait_loadcnt 0x1
	v_mul_f64_e32 v[2:3], v[60:61], v[99:100]
	scratch_store_b128 off, v[97:100], off offset:1848 ; 16-byte Folded Spill
	v_fma_f64 v[91:92], v[58:59], v[97:98], -v[2:3]
	v_mul_f64_e32 v[2:3], v[58:59], v[99:100]
	s_delay_alu instid0(VALU_DEP_1) | instskip(SKIP_2) | instid1(VALU_DEP_1)
	v_fma_f64 v[93:94], v[60:61], v[97:98], v[2:3]
	s_wait_loadcnt_dscnt 0x0
	v_mul_f64_e32 v[2:3], v[64:65], v[56:57]
	v_fma_f64 v[97:98], v[62:63], v[54:55], -v[2:3]
	v_mul_f64_e32 v[2:3], v[62:63], v[56:57]
	s_delay_alu instid0(VALU_DEP_1) | instskip(SKIP_1) | instid1(VALU_DEP_1)
	v_fma_f64 v[99:100], v[64:65], v[54:55], v[2:3]
	v_mul_u32_u24_e32 v2, 0xcccd, v95
	v_lshrrev_b32_e32 v219, 19, v2
	s_delay_alu instid0(VALU_DEP_1) | instskip(NEXT) | instid1(VALU_DEP_1)
	v_mul_lo_u16 v2, v219, 10
	v_sub_nc_u16 v220, v26, v2
	s_delay_alu instid0(VALU_DEP_1) | instskip(NEXT) | instid1(VALU_DEP_1)
	v_lshlrev_b16 v2, 1, v220
	v_and_b32_e32 v2, 0xffff, v2
	s_delay_alu instid0(VALU_DEP_1)
	v_lshlrev_b32_e32 v2, 4, v2
	s_clause 0x1
	global_load_b128 v[110:113], v2, s[10:11] offset:16
	global_load_b128 v[62:65], v2, s[10:11]
	scratch_store_b128 off, v[54:57], off offset:1864 ; 16-byte Folded Spill
	s_wait_loadcnt 0x1
	scratch_store_b128 off, v[110:113], off offset:1832 ; 16-byte Folded Spill
	s_wait_loadcnt 0x0
	scratch_store_b128 off, v[62:65], off offset:1880 ; 16-byte Folded Spill
	ds_load_b128 v[54:57], v152 offset:23328
	ds_load_b128 v[58:61], v152 offset:24624
	s_wait_dscnt 0x1
	v_mul_f64_e32 v[2:3], v[56:57], v[64:65]
	s_delay_alu instid0(VALU_DEP_1) | instskip(SKIP_1) | instid1(VALU_DEP_1)
	v_fma_f64 v[101:102], v[54:55], v[62:63], -v[2:3]
	v_mul_f64_e32 v[2:3], v[54:55], v[64:65]
	v_fma_f64 v[103:104], v[56:57], v[62:63], v[2:3]
	ds_load_b128 v[54:57], v152 offset:36288
	ds_load_b128 v[62:65], v152 offset:37584
	s_wait_dscnt 0x1
	v_mul_f64_e32 v[2:3], v[56:57], v[112:113]
	s_delay_alu instid0(VALU_DEP_1) | instskip(SKIP_1) | instid1(VALU_DEP_1)
	v_fma_f64 v[108:109], v[54:55], v[110:111], -v[2:3]
	v_mul_f64_e32 v[2:3], v[54:55], v[112:113]
	v_fma_f64 v[110:111], v[56:57], v[110:111], v[2:3]
	v_mul_u32_u24_e32 v2, 0xcccd, v90
	s_delay_alu instid0(VALU_DEP_1) | instskip(NEXT) | instid1(VALU_DEP_1)
	v_lshrrev_b32_e32 v221, 19, v2
	v_mul_lo_u16 v2, v221, 10
	s_delay_alu instid0(VALU_DEP_1) | instskip(NEXT) | instid1(VALU_DEP_1)
	v_sub_nc_u16 v222, v52, v2
	v_lshlrev_b16 v2, 1, v222
	s_delay_alu instid0(VALU_DEP_1) | instskip(NEXT) | instid1(VALU_DEP_1)
	v_and_b32_e32 v2, 0xffff, v2
	v_lshlrev_b32_e32 v2, 4, v2
	s_clause 0x1
	global_load_b128 v[114:117], v2, s[10:11]
	global_load_b128 v[54:57], v2, s[10:11] offset:16
	s_wait_loadcnt 0x1
	v_mul_f64_e32 v[2:3], v[60:61], v[116:117]
	scratch_store_b128 off, v[114:117], off offset:1896 ; 16-byte Folded Spill
	s_wait_loadcnt 0x0
	scratch_store_b128 off, v[54:57], off offset:1912 ; 16-byte Folded Spill
	v_fma_f64 v[112:113], v[58:59], v[114:115], -v[2:3]
	v_mul_f64_e32 v[2:3], v[58:59], v[116:117]
	s_delay_alu instid0(VALU_DEP_1) | instskip(SKIP_2) | instid1(VALU_DEP_1)
	v_fma_f64 v[114:115], v[60:61], v[114:115], v[2:3]
	s_wait_dscnt 0x0
	v_mul_f64_e32 v[2:3], v[64:65], v[56:57]
	v_fma_f64 v[116:117], v[62:63], v[54:55], -v[2:3]
	v_mul_f64_e32 v[2:3], v[62:63], v[56:57]
	v_add_f64_e32 v[62:63], v[12:13], v[22:23]
	s_delay_alu instid0(VALU_DEP_2)
	v_fma_f64 v[118:119], v[64:65], v[54:55], v[2:3]
	v_add_f64_e32 v[2:3], v[8:9], v[16:17]
	ds_load_b128 v[54:57], v152
	ds_load_b128 v[58:61], v152 offset:1296
	s_wait_dscnt 0x1
	v_fma_f64 v[120:121], v[62:63], -0.5, v[56:57]
	v_add_f64_e32 v[56:57], v[56:57], v[12:13]
	v_add_f64_e64 v[12:13], v[12:13], -v[22:23]
	v_fma_f64 v[2:3], v[2:3], -0.5, v[54:55]
	v_add_f64_e32 v[54:55], v[54:55], v[8:9]
	v_add_f64_e64 v[7:8], v[8:9], -v[16:17]
	v_add_f64_e32 v[56:57], v[56:57], v[22:23]
	s_delay_alu instid0(VALU_DEP_4) | instskip(NEXT) | instid1(VALU_DEP_4)
	v_fma_f64 v[62:63], v[12:13], s[2:3], v[2:3]
	v_add_f64_e32 v[54:55], v[54:55], v[16:17]
	s_wait_alu 0xfffe
	v_fma_f64 v[124:125], v[12:13], s[12:13], v[2:3]
	v_fma_f64 v[64:65], v[7:8], s[12:13], v[120:121]
	v_fma_f64 v[126:127], v[7:8], s[2:3], v[120:121]
	v_add_f64_e32 v[2:3], v[10:11], v[18:19]
	v_add_f64_e32 v[7:8], v[20:21], v[32:33]
	s_wait_dscnt 0x0
	v_add_f64_e32 v[16:17], v[58:59], v[10:11]
	s_delay_alu instid0(VALU_DEP_3) | instskip(NEXT) | instid1(VALU_DEP_3)
	v_fma_f64 v[2:3], v[2:3], -0.5, v[58:59]
	v_fma_f64 v[12:13], v[7:8], -0.5, v[60:61]
	v_add_f64_e32 v[7:8], v[60:61], v[20:21]
	v_add_f64_e64 v[58:59], v[20:21], -v[32:33]
	v_add_f64_e32 v[20:21], v[16:17], v[18:19]
	v_add_f64_e64 v[18:19], v[10:11], -v[18:19]
	s_delay_alu instid0(VALU_DEP_4) | instskip(NEXT) | instid1(VALU_DEP_4)
	v_add_f64_e32 v[22:23], v[7:8], v[32:33]
	v_fma_f64 v[8:9], v[58:59], s[2:3], v[2:3]
	v_fma_f64 v[16:17], v[58:59], s[12:13], v[2:3]
	s_delay_alu instid0(VALU_DEP_4)
	v_fma_f64 v[10:11], v[18:19], s[12:13], v[12:13]
	v_fma_f64 v[18:19], v[18:19], s[2:3], v[12:13]
	v_add_f64_e32 v[2:3], v[14:15], v[28:29]
	v_add_f64_e32 v[12:13], v[132:133], v[30:31]
	ds_load_b128 v[58:61], v152 offset:2592
	ds_load_b128 v[128:131], v152 offset:3888
	;; [unrolled: 1-line block ×8, first 2 shown]
	s_wait_dscnt 0x6
	v_add_f64_e32 v[122:123], v[128:129], v[34:35]
	v_fma_f64 v[2:3], v[2:3], -0.5, v[58:59]
	v_fma_f64 v[120:121], v[12:13], -0.5, v[60:61]
	v_add_f64_e32 v[12:13], v[60:61], v[132:133]
	v_add_f64_e32 v[58:59], v[58:59], v[14:15]
	v_add_f64_e64 v[60:61], v[132:133], -v[30:31]
	s_delay_alu instid0(VALU_DEP_3) | instskip(NEXT) | instid1(VALU_DEP_3)
	v_add_f64_e32 v[32:33], v[12:13], v[30:31]
	v_add_f64_e32 v[30:31], v[58:59], v[28:29]
	v_add_f64_e64 v[28:29], v[14:15], -v[28:29]
	s_delay_alu instid0(VALU_DEP_4) | instskip(SKIP_2) | instid1(VALU_DEP_4)
	v_fma_f64 v[12:13], v[60:61], s[2:3], v[2:3]
	v_fma_f64 v[58:59], v[60:61], s[12:13], v[2:3]
	v_add_f64_e32 v[2:3], v[34:35], v[66:67]
	v_fma_f64 v[14:15], v[28:29], s[12:13], v[120:121]
	v_fma_f64 v[60:61], v[28:29], s[2:3], v[120:121]
	v_add_f64_e32 v[28:29], v[38:39], v[5:6]
	v_add_f64_e32 v[120:121], v[130:131], v[38:39]
	v_fma_f64 v[2:3], v[2:3], -0.5, v[128:129]
	v_add_f64_e64 v[38:39], v[38:39], -v[5:6]
	v_add_f64_e32 v[128:129], v[122:123], v[66:67]
	v_fma_f64 v[28:29], v[28:29], -0.5, v[130:131]
	v_add_f64_e32 v[130:131], v[120:121], v[5:6]
	v_add_f64_e64 v[4:5], v[34:35], -v[66:67]
	v_fma_f64 v[132:133], v[38:39], s[2:3], v[2:3]
	v_fma_f64 v[136:137], v[38:39], s[12:13], v[2:3]
	v_add_f64_e32 v[2:3], v[68:69], v[74:75]
	s_wait_dscnt 0x5
	v_add_f64_e32 v[6:7], v[142:143], v[72:73]
	v_add_f64_e64 v[34:35], v[72:73], -v[0:1]
	v_add_f64_e64 v[38:39], v[48:49], -v[78:79]
	v_fma_f64 v[134:135], v[4:5], s[12:13], v[28:29]
	v_fma_f64 v[138:139], v[4:5], s[2:3], v[28:29]
	v_add_f64_e32 v[4:5], v[72:73], v[0:1]
	v_fma_f64 v[2:3], v[2:3], -0.5, v[140:141]
	v_add_f64_e32 v[28:29], v[140:141], v[68:69]
	s_delay_alu instid0(VALU_DEP_3)
	v_fma_f64 v[4:5], v[4:5], -0.5, v[142:143]
	v_add_f64_e32 v[142:143], v[6:7], v[0:1]
	v_add_f64_e64 v[6:7], v[68:69], -v[74:75]
	v_fma_f64 v[148:149], v[34:35], s[2:3], v[2:3]
	v_fma_f64 v[0:1], v[34:35], s[12:13], v[2:3]
	v_add_f64_e32 v[140:141], v[28:29], v[74:75]
	s_wait_dscnt 0x4
	v_add_f64_e32 v[28:29], v[146:147], v[48:49]
	v_add_f64_e32 v[34:35], v[144:145], v[76:77]
	v_fma_f64 v[150:151], v[6:7], s[12:13], v[4:5]
	v_fma_f64 v[2:3], v[6:7], s[2:3], v[4:5]
	v_add_f64_e32 v[4:5], v[76:77], v[50:51]
	v_add_f64_e32 v[6:7], v[48:49], v[78:79]
	s_delay_alu instid0(VALU_DEP_2) | instskip(NEXT) | instid1(VALU_DEP_2)
	v_fma_f64 v[4:5], v[4:5], -0.5, v[144:145]
	v_fma_f64 v[6:7], v[6:7], -0.5, v[146:147]
	v_add_f64_e32 v[146:147], v[28:29], v[78:79]
	v_add_f64_e64 v[28:29], v[76:77], -v[50:51]
	v_add_f64_e32 v[144:145], v[34:35], v[50:51]
	s_wait_dscnt 0x3
	v_add_f64_e32 v[34:35], v[164:165], v[81:82]
	v_fma_f64 v[156:157], v[38:39], s[2:3], v[4:5]
	v_fma_f64 v[160:161], v[38:39], s[12:13], v[4:5]
	v_add_f64_e32 v[4:5], v[81:82], v[85:86]
	v_add_f64_e64 v[38:39], v[83:84], -v[87:88]
	v_fma_f64 v[158:159], v[28:29], s[12:13], v[6:7]
	v_fma_f64 v[162:163], v[28:29], s[2:3], v[6:7]
	v_add_f64_e32 v[6:7], v[83:84], v[87:88]
	v_add_f64_e32 v[28:29], v[166:167], v[83:84]
	v_fma_f64 v[4:5], v[4:5], -0.5, v[164:165]
	v_add_f64_e32 v[164:165], v[34:35], v[85:86]
	s_wait_dscnt 0x2
	v_add_f64_e32 v[34:35], v[168:169], v[91:92]
	v_fma_f64 v[6:7], v[6:7], -0.5, v[166:167]
	v_add_f64_e32 v[166:167], v[28:29], v[87:88]
	v_add_f64_e64 v[28:29], v[81:82], -v[85:86]
	v_fma_f64 v[172:173], v[38:39], s[2:3], v[4:5]
	v_fma_f64 v[176:177], v[38:39], s[12:13], v[4:5]
	v_add_f64_e32 v[4:5], v[91:92], v[97:98]
	v_add_f64_e64 v[38:39], v[93:94], -v[99:100]
	v_fma_f64 v[174:175], v[28:29], s[12:13], v[6:7]
	v_fma_f64 v[178:179], v[28:29], s[2:3], v[6:7]
	v_add_f64_e32 v[6:7], v[93:94], v[99:100]
	v_add_f64_e32 v[28:29], v[170:171], v[93:94]
	v_fma_f64 v[4:5], v[4:5], -0.5, v[168:169]
	v_add_f64_e32 v[168:169], v[34:35], v[97:98]
	s_wait_dscnt 0x1
	v_add_f64_e32 v[34:35], v[188:189], v[101:102]
	v_fma_f64 v[6:7], v[6:7], -0.5, v[170:171]
	v_add_f64_e32 v[170:171], v[28:29], v[99:100]
	v_add_f64_e64 v[28:29], v[91:92], -v[97:98]
	;; [unrolled: 15-line block ×3, first 2 shown]
	v_fma_f64 v[196:197], v[38:39], s[2:3], v[4:5]
	v_fma_f64 v[200:201], v[38:39], s[12:13], v[4:5]
	v_add_f64_e32 v[4:5], v[112:113], v[116:117]
	v_add_f64_e64 v[38:39], v[114:115], -v[118:119]
	v_fma_f64 v[198:199], v[28:29], s[12:13], v[6:7]
	v_fma_f64 v[202:203], v[28:29], s[2:3], v[6:7]
	v_add_f64_e32 v[6:7], v[114:115], v[118:119]
	v_add_f64_e32 v[28:29], v[194:195], v[114:115]
	v_fma_f64 v[4:5], v[4:5], -0.5, v[192:193]
	v_add_f64_e32 v[192:193], v[34:35], v[116:117]
	s_delay_alu instid0(VALU_DEP_4) | instskip(NEXT) | instid1(VALU_DEP_4)
	v_fma_f64 v[6:7], v[6:7], -0.5, v[194:195]
	v_add_f64_e32 v[194:195], v[28:29], v[118:119]
	v_add_f64_e64 v[28:29], v[112:113], -v[116:117]
	v_fma_f64 v[205:206], v[38:39], s[2:3], v[4:5]
	v_fma_f64 v[209:210], v[38:39], s[12:13], v[4:5]
	v_and_b32_e32 v4, 0xffff, v42
	s_delay_alu instid0(VALU_DEP_1) | instskip(NEXT) | instid1(VALU_DEP_1)
	v_mul_u32_u24_e32 v4, 30, v4
	v_add_lshl_u32 v4, v4, v43, 4
	v_fma_f64 v[207:208], v[28:29], s[12:13], v[6:7]
	v_fma_f64 v[211:212], v[28:29], s[2:3], v[6:7]
	scratch_store_b32 off, v4, off offset:1700 ; 4-byte Folded Spill
	global_wb scope:SCOPE_SE
	s_wait_storecnt 0x0
	s_barrier_signal -1
	s_barrier_wait -1
	global_inv scope:SCOPE_SE
	ds_store_b128 v4, v[54:57]
	ds_store_b128 v4, v[62:65] offset:160
	ds_store_b128 v4, v[124:127] offset:320
	v_and_b32_e32 v4, 0xffff, v44
	s_delay_alu instid0(VALU_DEP_1) | instskip(NEXT) | instid1(VALU_DEP_1)
	v_mul_u32_u24_e32 v4, 30, v4
	v_add_lshl_u32 v4, v4, v45, 4
	scratch_store_b32 off, v4, off offset:1696 ; 4-byte Folded Spill
	ds_store_b128 v4, v[20:23]
	ds_store_b128 v4, v[8:11] offset:160
	ds_store_b128 v4, v[16:19] offset:320
	v_and_b32_e32 v4, 0xffff, v46
	s_delay_alu instid0(VALU_DEP_1) | instskip(NEXT) | instid1(VALU_DEP_1)
	v_mul_u32_u24_e32 v4, 30, v4
	v_add_lshl_u32 v4, v4, v47, 4
	scratch_store_b32 off, v4, off offset:1692 ; 4-byte Folded Spill
	ds_store_b128 v4, v[30:33]
	ds_store_b128 v4, v[12:15] offset:160
	ds_store_b128 v4, v[58:61] offset:320
	v_mad_u16 v4, v153, 30, v154
	s_delay_alu instid0(VALU_DEP_1) | instskip(NEXT) | instid1(VALU_DEP_1)
	v_and_b32_e32 v4, 0xffff, v4
	v_lshlrev_b32_e32 v4, 4, v4
	scratch_store_b32 off, v4, off offset:1688 ; 4-byte Folded Spill
	ds_store_b128 v4, v[128:131]
	ds_store_b128 v4, v[132:135] offset:160
	ds_store_b128 v4, v[136:139] offset:320
	v_mad_u16 v4, v155, 30, v213
	s_delay_alu instid0(VALU_DEP_1) | instskip(NEXT) | instid1(VALU_DEP_1)
	v_and_b32_e32 v4, 0xffff, v4
	v_lshlrev_b32_e32 v4, 4, v4
	scratch_store_b32 off, v4, off offset:1684 ; 4-byte Folded Spill
	ds_store_b128 v4, v[140:143]
	ds_store_b128 v4, v[148:151] offset:160
	ds_store_b128 v4, v[0:3] offset:320
	v_mad_u16 v0, v24, 30, v214
	s_delay_alu instid0(VALU_DEP_1) | instskip(NEXT) | instid1(VALU_DEP_1)
	v_dual_mov_b32 v151, v223 :: v_dual_and_b32 v0, 0xffff, v0
	v_lshlrev_b32_e32 v0, 4, v0
	scratch_store_b32 off, v0, off offset:1680 ; 4-byte Folded Spill
	ds_store_b128 v0, v[144:147]
	ds_store_b128 v0, v[156:159] offset:160
	ds_store_b128 v0, v[160:163] offset:320
	v_mad_u16 v0, v215, 30, v216
	s_delay_alu instid0(VALU_DEP_1) | instskip(NEXT) | instid1(VALU_DEP_1)
	v_and_b32_e32 v0, 0xffff, v0
	v_lshlrev_b32_e32 v0, 4, v0
	scratch_store_b32 off, v0, off offset:1676 ; 4-byte Folded Spill
	ds_store_b128 v0, v[164:167]
	ds_store_b128 v0, v[172:175] offset:160
	ds_store_b128 v0, v[176:179] offset:320
	v_mad_u16 v0, v217, 30, v218
	v_mov_b32_e32 v172, v151
	s_delay_alu instid0(VALU_DEP_2) | instskip(NEXT) | instid1(VALU_DEP_1)
	v_and_b32_e32 v0, 0xffff, v0
	v_lshlrev_b32_e32 v0, 4, v0
	scratch_store_b32 off, v0, off offset:1672 ; 4-byte Folded Spill
	ds_store_b128 v0, v[168:171]
	ds_store_b128 v0, v[180:183] offset:160
	ds_store_b128 v0, v[184:187] offset:320
	v_mad_u16 v0, v219, 30, v220
	s_delay_alu instid0(VALU_DEP_1) | instskip(NEXT) | instid1(VALU_DEP_1)
	v_dual_mov_b32 v171, v253 :: v_dual_and_b32 v0, 0xffff, v0
	v_lshlrev_b32_e32 v0, 4, v0
	scratch_store_b32 off, v0, off offset:1668 ; 4-byte Folded Spill
	ds_store_b128 v0, v[188:191]
	ds_store_b128 v0, v[196:199] offset:160
	ds_store_b128 v0, v[200:203] offset:320
	v_mad_u16 v0, v221, 30, v222
	s_delay_alu instid0(VALU_DEP_1) | instskip(NEXT) | instid1(VALU_DEP_1)
	v_dual_mov_b32 v189, v253 :: v_dual_and_b32 v0, 0xffff, v0
	v_lshlrev_b32_e32 v0, 4, v0
	scratch_store_b32 off, v0, off offset:1664 ; 4-byte Folded Spill
	ds_store_b128 v0, v[192:195]
	ds_store_b128 v0, v[205:208] offset:160
	ds_store_b128 v0, v[209:212] offset:320
	v_mul_lo_u16 v0, 0x89, v40
	global_wb scope:SCOPE_SE
	s_wait_storecnt_dscnt 0x0
	s_barrier_signal -1
	s_barrier_wait -1
	global_inv scope:SCOPE_SE
	v_lshrrev_b16 v24, 12, v0
	s_delay_alu instid0(VALU_DEP_1) | instskip(SKIP_1) | instid1(VALU_DEP_2)
	v_mul_lo_u16 v0, v24, 30
	v_and_b32_e32 v24, 0xffff, v24
	v_sub_nc_u16 v0, v204, v0
	s_delay_alu instid0(VALU_DEP_2) | instskip(NEXT) | instid1(VALU_DEP_2)
	v_mul_u32_u24_e32 v24, 0x5a, v24
	v_and_b32_e32 v132, 0xff, v0
	s_delay_alu instid0(VALU_DEP_1) | instskip(NEXT) | instid1(VALU_DEP_3)
	v_lshlrev_b32_e32 v0, 5, v132
	v_add_lshl_u32 v24, v24, v132, 4
	s_clause 0x1
	global_load_b128 v[16:19], v0, s[10:11] offset:320
	global_load_b128 v[20:23], v0, s[10:11] offset:336
	s_wait_loadcnt 0x1
	scratch_store_b128 off, v[16:19], off offset:1472 ; 16-byte Folded Spill
	ds_load_b128 v[8:11], v152 offset:12960
	ds_load_b128 v[12:15], v152 offset:14256
	s_wait_dscnt 0x1
	v_mul_f64_e32 v[0:1], v[10:11], v[18:19]
	v_mul_f64_e32 v[2:3], v[8:9], v[18:19]
	s_delay_alu instid0(VALU_DEP_2) | instskip(NEXT) | instid1(VALU_DEP_2)
	v_fma_f64 v[0:1], v[8:9], v[16:17], -v[0:1]
	v_fma_f64 v[2:3], v[10:11], v[16:17], v[2:3]
	ds_load_b128 v[8:11], v152 offset:25920
	ds_load_b128 v[16:19], v152 offset:27216
	s_wait_loadcnt_dscnt 0x1
	v_mul_f64_e32 v[4:5], v[10:11], v[22:23]
	v_mul_f64_e32 v[6:7], v[8:9], v[22:23]
	s_delay_alu instid0(VALU_DEP_2) | instskip(SKIP_1) | instid1(VALU_DEP_3)
	v_fma_f64 v[4:5], v[8:9], v[20:21], -v[4:5]
	v_mul_lo_u16 v8, 0x89, v41
	v_fma_f64 v[6:7], v[10:11], v[20:21], v[6:7]
	s_delay_alu instid0(VALU_DEP_2) | instskip(NEXT) | instid1(VALU_DEP_1)
	v_lshrrev_b16 v133, 12, v8
	v_mul_lo_u16 v8, v133, 30
	s_delay_alu instid0(VALU_DEP_1) | instskip(NEXT) | instid1(VALU_DEP_1)
	v_sub_nc_u16 v8, v151, v8
	v_and_b32_e32 v134, 0xff, v8
	s_delay_alu instid0(VALU_DEP_1)
	v_lshlrev_b32_e32 v8, 5, v134
	global_load_b128 v[30:33], v8, s[10:11] offset:320
	scratch_store_b128 off, v[20:23], off offset:1440 ; 16-byte Folded Spill
	global_load_b128 v[20:23], v8, s[10:11] offset:336
	s_wait_loadcnt 0x1
	scratch_store_b128 off, v[30:33], off offset:1520 ; 16-byte Folded Spill
	v_mul_f64_e32 v[8:9], v[14:15], v[32:33]
	s_wait_loadcnt 0x0
	scratch_store_b128 off, v[20:23], off offset:1536 ; 16-byte Folded Spill
	v_fma_f64 v[28:29], v[12:13], v[30:31], -v[8:9]
	v_mul_f64_e32 v[8:9], v[12:13], v[32:33]
	s_delay_alu instid0(VALU_DEP_1) | instskip(SKIP_2) | instid1(VALU_DEP_1)
	v_fma_f64 v[30:31], v[14:15], v[30:31], v[8:9]
	s_wait_dscnt 0x0
	v_mul_f64_e32 v[8:9], v[18:19], v[22:23]
	v_fma_f64 v[38:39], v[16:17], v[20:21], -v[8:9]
	v_mul_f64_e32 v[8:9], v[16:17], v[22:23]
	s_delay_alu instid0(VALU_DEP_1) | instskip(SKIP_1) | instid1(VALU_DEP_1)
	v_fma_f64 v[40:41], v[18:19], v[20:21], v[8:9]
	v_mul_lo_u16 v8, 0x89, v37
	v_lshrrev_b16 v135, 12, v8
	s_delay_alu instid0(VALU_DEP_1) | instskip(NEXT) | instid1(VALU_DEP_1)
	v_mul_lo_u16 v8, v135, 30
	v_sub_nc_u16 v8, v71, v8
	s_delay_alu instid0(VALU_DEP_1) | instskip(NEXT) | instid1(VALU_DEP_1)
	v_and_b32_e32 v136, 0xff, v8
	v_lshlrev_b32_e32 v8, 5, v136
	s_clause 0x1
	global_load_b128 v[18:21], v8, s[10:11] offset:320
	global_load_b128 v[32:35], v8, s[10:11] offset:336
	s_wait_loadcnt 0x1
	scratch_store_b128 off, v[18:21], off offset:1488 ; 16-byte Folded Spill
	s_wait_loadcnt 0x0
	scratch_store_b128 off, v[32:35], off offset:1456 ; 16-byte Folded Spill
	ds_load_b128 v[8:11], v152 offset:15552
	ds_load_b128 v[12:15], v152 offset:16848
	s_wait_dscnt 0x1
	v_mul_f64_e32 v[16:17], v[10:11], v[20:21]
	s_delay_alu instid0(VALU_DEP_1) | instskip(SKIP_1) | instid1(VALU_DEP_1)
	v_fma_f64 v[48:49], v[8:9], v[18:19], -v[16:17]
	v_mul_f64_e32 v[8:9], v[8:9], v[20:21]
	v_fma_f64 v[50:51], v[10:11], v[18:19], v[8:9]
	ds_load_b128 v[8:11], v152 offset:28512
	ds_load_b128 v[16:19], v152 offset:29808
	s_wait_dscnt 0x1
	v_mul_f64_e32 v[20:21], v[10:11], v[34:35]
	s_delay_alu instid0(VALU_DEP_1) | instskip(SKIP_1) | instid1(VALU_DEP_1)
	v_fma_f64 v[58:59], v[8:9], v[32:33], -v[20:21]
	v_mul_f64_e32 v[8:9], v[8:9], v[34:35]
	v_fma_f64 v[60:61], v[10:11], v[32:33], v[8:9]
	v_mul_u32_u24_e32 v8, 0x8889, v53
	s_delay_alu instid0(VALU_DEP_1) | instskip(NEXT) | instid1(VALU_DEP_1)
	v_lshrrev_b32_e32 v137, 20, v8
	v_mul_lo_u16 v8, v137, 30
	s_delay_alu instid0(VALU_DEP_1) | instskip(NEXT) | instid1(VALU_DEP_1)
	v_sub_nc_u16 v138, v89, v8
	v_lshlrev_b16 v8, 5, v138
	s_delay_alu instid0(VALU_DEP_1) | instskip(NEXT) | instid1(VALU_DEP_1)
	v_and_b32_e32 v8, 0xffff, v8
	v_add_co_u32 v8, s30, s10, v8
	s_delay_alu instid0(VALU_DEP_1)
	v_add_co_ci_u32_e64 v9, null, s11, 0, s30
	s_clause 0x1
	global_load_b128 v[32:35], v[8:9], off offset:320
	global_load_b128 v[20:23], v[8:9], off offset:336
	s_wait_loadcnt 0x1
	v_mul_f64_e32 v[8:9], v[14:15], v[34:35]
	scratch_store_b128 off, v[32:35], off offset:1568 ; 16-byte Folded Spill
	s_wait_loadcnt 0x0
	scratch_store_b128 off, v[20:23], off offset:1600 ; 16-byte Folded Spill
	v_fma_f64 v[66:67], v[12:13], v[32:33], -v[8:9]
	v_mul_f64_e32 v[8:9], v[12:13], v[34:35]
	s_delay_alu instid0(VALU_DEP_1) | instskip(SKIP_2) | instid1(VALU_DEP_1)
	v_fma_f64 v[68:69], v[14:15], v[32:33], v[8:9]
	s_wait_dscnt 0x0
	v_mul_f64_e32 v[8:9], v[18:19], v[22:23]
	v_fma_f64 v[72:73], v[16:17], v[20:21], -v[8:9]
	v_mul_f64_e32 v[8:9], v[16:17], v[22:23]
	s_delay_alu instid0(VALU_DEP_1) | instskip(SKIP_1) | instid1(VALU_DEP_1)
	v_fma_f64 v[74:75], v[18:19], v[20:21], v[8:9]
	v_mul_u32_u24_e32 v8, 0x8889, v36
	v_lshrrev_b32_e32 v139, 20, v8
	s_delay_alu instid0(VALU_DEP_1) | instskip(NEXT) | instid1(VALU_DEP_1)
	v_mul_lo_u16 v8, v139, 30
	v_sub_nc_u16 v140, v70, v8
	s_delay_alu instid0(VALU_DEP_1) | instskip(NEXT) | instid1(VALU_DEP_1)
	v_lshlrev_b16 v8, 5, v140
	v_and_b32_e32 v8, 0xffff, v8
	s_delay_alu instid0(VALU_DEP_1)
	v_add_co_u32 v8, s30, s10, v8
	s_wait_alu 0xf1ff
	v_add_co_ci_u32_e64 v9, null, s11, 0, s30
	s_clause 0x1
	global_load_b128 v[18:21], v[8:9], off offset:320
	global_load_b128 v[32:35], v[8:9], off offset:336
	s_wait_loadcnt 0x1
	scratch_store_b128 off, v[18:21], off offset:1552 ; 16-byte Folded Spill
	s_wait_loadcnt 0x0
	scratch_store_b128 off, v[32:35], off offset:1504 ; 16-byte Folded Spill
	ds_load_b128 v[8:11], v152 offset:18144
	ds_load_b128 v[12:15], v152 offset:19440
	s_wait_dscnt 0x1
	v_mul_f64_e32 v[16:17], v[10:11], v[20:21]
	s_delay_alu instid0(VALU_DEP_1) | instskip(SKIP_1) | instid1(VALU_DEP_1)
	v_fma_f64 v[76:77], v[8:9], v[18:19], -v[16:17]
	v_mul_f64_e32 v[8:9], v[8:9], v[20:21]
	v_fma_f64 v[78:79], v[10:11], v[18:19], v[8:9]
	ds_load_b128 v[8:11], v152 offset:31104
	ds_load_b128 v[16:19], v152 offset:32400
	s_wait_dscnt 0x1
	v_mul_f64_e32 v[20:21], v[10:11], v[34:35]
	s_delay_alu instid0(VALU_DEP_1) | instskip(SKIP_1) | instid1(VALU_DEP_1)
	v_fma_f64 v[81:82], v[8:9], v[32:33], -v[20:21]
	v_mul_f64_e32 v[8:9], v[8:9], v[34:35]
	v_fma_f64 v[83:84], v[10:11], v[32:33], v[8:9]
	v_mul_u32_u24_e32 v8, 0x8889, v106
	s_delay_alu instid0(VALU_DEP_1) | instskip(NEXT) | instid1(VALU_DEP_1)
	v_lshrrev_b32_e32 v141, 20, v8
	v_mul_lo_u16 v8, v141, 30
	s_delay_alu instid0(VALU_DEP_1) | instskip(NEXT) | instid1(VALU_DEP_1)
	v_sub_nc_u16 v142, v105, v8
	v_lshlrev_b16 v8, 5, v142
	s_delay_alu instid0(VALU_DEP_1) | instskip(NEXT) | instid1(VALU_DEP_1)
	v_and_b32_e32 v8, 0xffff, v8
	v_add_co_u32 v8, s30, s10, v8
	s_wait_alu 0xf1ff
	v_add_co_ci_u32_e64 v9, null, s11, 0, s30
	s_clause 0x1
	global_load_b128 v[196:199], v[8:9], off offset:320
	global_load_b128 v[20:23], v[8:9], off offset:336
	s_wait_loadcnt 0x1
	v_mul_f64_e32 v[8:9], v[14:15], v[198:199]
	s_wait_loadcnt 0x0
	scratch_store_b128 off, v[20:23], off offset:1648 ; 16-byte Folded Spill
	v_fma_f64 v[85:86], v[12:13], v[196:197], -v[8:9]
	v_mul_f64_e32 v[8:9], v[12:13], v[198:199]
	s_delay_alu instid0(VALU_DEP_1) | instskip(SKIP_2) | instid1(VALU_DEP_1)
	v_fma_f64 v[87:88], v[14:15], v[196:197], v[8:9]
	s_wait_dscnt 0x0
	v_mul_f64_e32 v[8:9], v[18:19], v[22:23]
	v_fma_f64 v[91:92], v[16:17], v[20:21], -v[8:9]
	v_mul_f64_e32 v[8:9], v[16:17], v[22:23]
	s_delay_alu instid0(VALU_DEP_1) | instskip(SKIP_1) | instid1(VALU_DEP_1)
	v_fma_f64 v[93:94], v[18:19], v[20:21], v[8:9]
	v_mul_u32_u24_e32 v8, 0x8889, v80
	v_lshrrev_b32_e32 v143, 20, v8
	s_delay_alu instid0(VALU_DEP_1) | instskip(NEXT) | instid1(VALU_DEP_1)
	v_mul_lo_u16 v8, v143, 30
	v_sub_nc_u16 v144, v25, v8
	s_delay_alu instid0(VALU_DEP_1) | instskip(NEXT) | instid1(VALU_DEP_1)
	v_lshlrev_b16 v8, 5, v144
	v_and_b32_e32 v8, 0xffff, v8
	s_delay_alu instid0(VALU_DEP_1)
	v_add_co_u32 v8, s30, s10, v8
	s_wait_alu 0xf1ff
	v_add_co_ci_u32_e64 v9, null, s11, 0, s30
	s_clause 0x1
	global_load_b128 v[18:21], v[8:9], off offset:320
	global_load_b128 v[32:35], v[8:9], off offset:336
	s_wait_loadcnt 0x1
	scratch_store_b128 off, v[18:21], off offset:1616 ; 16-byte Folded Spill
	s_wait_loadcnt 0x0
	scratch_store_b128 off, v[32:35], off offset:1584 ; 16-byte Folded Spill
	ds_load_b128 v[8:11], v152 offset:20736
	ds_load_b128 v[12:15], v152 offset:22032
	s_wait_dscnt 0x1
	v_mul_f64_e32 v[16:17], v[10:11], v[20:21]
	s_delay_alu instid0(VALU_DEP_1) | instskip(SKIP_1) | instid1(VALU_DEP_1)
	v_fma_f64 v[97:98], v[8:9], v[18:19], -v[16:17]
	v_mul_f64_e32 v[8:9], v[8:9], v[20:21]
	v_fma_f64 v[99:100], v[10:11], v[18:19], v[8:9]
	ds_load_b128 v[8:11], v152 offset:33696
	ds_load_b128 v[16:19], v152 offset:34992
	s_wait_dscnt 0x1
	v_mul_f64_e32 v[20:21], v[10:11], v[34:35]
	s_delay_alu instid0(VALU_DEP_1) | instskip(SKIP_1) | instid1(VALU_DEP_1)
	v_fma_f64 v[101:102], v[8:9], v[32:33], -v[20:21]
	v_mul_f64_e32 v[8:9], v[8:9], v[34:35]
	v_fma_f64 v[103:104], v[10:11], v[32:33], v[8:9]
	v_mul_u32_u24_e32 v8, 0x8889, v96
	s_delay_alu instid0(VALU_DEP_1) | instskip(NEXT) | instid1(VALU_DEP_1)
	v_lshrrev_b32_e32 v145, 20, v8
	v_mul_lo_u16 v8, v145, 30
	s_delay_alu instid0(VALU_DEP_1) | instskip(NEXT) | instid1(VALU_DEP_1)
	v_sub_nc_u16 v146, v27, v8
	v_lshlrev_b16 v8, 5, v146
	s_delay_alu instid0(VALU_DEP_1) | instskip(NEXT) | instid1(VALU_DEP_1)
	v_and_b32_e32 v8, 0xffff, v8
	v_add_co_u32 v8, s30, s10, v8
	s_wait_alu 0xf1ff
	v_add_co_ci_u32_e64 v9, null, s11, 0, s30
	s_clause 0x1
	global_load_b128 v[181:184], v[8:9], off offset:320
	global_load_b128 v[192:195], v[8:9], off offset:336
	s_wait_loadcnt 0x1
	v_mul_f64_e32 v[8:9], v[14:15], v[183:184]
	s_delay_alu instid0(VALU_DEP_1) | instskip(SKIP_1) | instid1(VALU_DEP_1)
	v_fma_f64 v[108:109], v[12:13], v[181:182], -v[8:9]
	v_mul_f64_e32 v[8:9], v[12:13], v[183:184]
	v_fma_f64 v[110:111], v[14:15], v[181:182], v[8:9]
	s_wait_loadcnt_dscnt 0x0
	v_mul_f64_e32 v[8:9], v[18:19], v[194:195]
	s_delay_alu instid0(VALU_DEP_1) | instskip(SKIP_1) | instid1(VALU_DEP_1)
	v_fma_f64 v[112:113], v[16:17], v[192:193], -v[8:9]
	v_mul_f64_e32 v[8:9], v[16:17], v[194:195]
	v_fma_f64 v[114:115], v[18:19], v[192:193], v[8:9]
	v_mul_u32_u24_e32 v8, 0x8889, v95
	s_delay_alu instid0(VALU_DEP_1) | instskip(NEXT) | instid1(VALU_DEP_1)
	v_lshrrev_b32_e32 v147, 20, v8
	v_mul_lo_u16 v8, v147, 30
	s_delay_alu instid0(VALU_DEP_1) | instskip(NEXT) | instid1(VALU_DEP_1)
	v_sub_nc_u16 v148, v26, v8
	v_lshlrev_b16 v8, 5, v148
	s_delay_alu instid0(VALU_DEP_1) | instskip(NEXT) | instid1(VALU_DEP_1)
	v_and_b32_e32 v8, 0xffff, v8
	v_add_co_u32 v8, s30, s10, v8
	s_wait_alu 0xf1ff
	v_add_co_ci_u32_e64 v9, null, s11, 0, s30
	s_clause 0x1
	global_load_b128 v[200:203], v[8:9], off offset:320
	global_load_b128 v[32:35], v[8:9], off offset:336
	s_wait_loadcnt 0x0
	scratch_store_b128 off, v[32:35], off offset:1632 ; 16-byte Folded Spill
	ds_load_b128 v[8:11], v152 offset:23328
	ds_load_b128 v[12:15], v152 offset:24624
	s_wait_dscnt 0x1
	v_mul_f64_e32 v[16:17], v[10:11], v[202:203]
	s_delay_alu instid0(VALU_DEP_1) | instskip(SKIP_1) | instid1(VALU_DEP_1)
	v_fma_f64 v[116:117], v[8:9], v[200:201], -v[16:17]
	v_mul_f64_e32 v[8:9], v[8:9], v[202:203]
	v_fma_f64 v[118:119], v[10:11], v[200:201], v[8:9]
	ds_load_b128 v[8:11], v152 offset:36288
	ds_load_b128 v[16:19], v152 offset:37584
	s_wait_dscnt 0x1
	v_mul_f64_e32 v[20:21], v[10:11], v[34:35]
	s_delay_alu instid0(VALU_DEP_1) | instskip(SKIP_1) | instid1(VALU_DEP_1)
	v_fma_f64 v[120:121], v[8:9], v[32:33], -v[20:21]
	v_mul_f64_e32 v[8:9], v[8:9], v[34:35]
	v_fma_f64 v[122:123], v[10:11], v[32:33], v[8:9]
	v_mul_u32_u24_e32 v8, 0x8889, v90
	s_delay_alu instid0(VALU_DEP_1) | instskip(NEXT) | instid1(VALU_DEP_1)
	v_lshrrev_b32_e32 v149, 20, v8
	v_mul_lo_u16 v8, v149, 30
	s_delay_alu instid0(VALU_DEP_1) | instskip(NEXT) | instid1(VALU_DEP_1)
	v_sub_nc_u16 v150, v52, v8
	v_lshlrev_b16 v8, 5, v150
	s_delay_alu instid0(VALU_DEP_1) | instskip(NEXT) | instid1(VALU_DEP_1)
	v_and_b32_e32 v8, 0xffff, v8
	v_add_co_u32 v8, s30, s10, v8
	s_wait_alu 0xf1ff
	v_add_co_ci_u32_e64 v9, null, s11, 0, s30
	s_clause 0x1
	global_load_b128 v[173:176], v[8:9], off offset:320
	global_load_b128 v[177:180], v[8:9], off offset:336
	s_wait_loadcnt 0x1
	v_mul_f64_e32 v[8:9], v[14:15], v[175:176]
	s_delay_alu instid0(VALU_DEP_1) | instskip(SKIP_1) | instid1(VALU_DEP_1)
	v_fma_f64 v[124:125], v[12:13], v[173:174], -v[8:9]
	v_mul_f64_e32 v[8:9], v[12:13], v[175:176]
	v_fma_f64 v[126:127], v[14:15], v[173:174], v[8:9]
	s_wait_loadcnt_dscnt 0x0
	v_mul_f64_e32 v[8:9], v[18:19], v[179:180]
	s_delay_alu instid0(VALU_DEP_1) | instskip(SKIP_2) | instid1(VALU_DEP_2)
	v_fma_f64 v[128:129], v[16:17], v[177:178], -v[8:9]
	v_mul_f64_e32 v[8:9], v[16:17], v[179:180]
	v_add_f64_e32 v[16:17], v[0:1], v[4:5]
	v_fma_f64 v[130:131], v[18:19], v[177:178], v[8:9]
	ds_load_b128 v[8:11], v152
	ds_load_b128 v[12:15], v152 offset:1296
	ds_load_b128 v[44:47], v152 offset:2592
	;; [unrolled: 1-line block ×7, first 2 shown]
	s_wait_dscnt 0x7
	v_fma_f64 v[18:19], v[16:17], -0.5, v[8:9]
	v_add_f64_e32 v[16:17], v[2:3], v[6:7]
	v_add_f64_e32 v[8:9], v[8:9], v[0:1]
	v_add_f64_e64 v[0:1], v[0:1], -v[4:5]
	s_delay_alu instid0(VALU_DEP_3)
	v_fma_f64 v[22:23], v[16:17], -0.5, v[10:11]
	v_add_f64_e32 v[10:11], v[10:11], v[2:3]
	v_add_f64_e64 v[2:3], v[2:3], -v[6:7]
	v_add_f64_e32 v[32:33], v[8:9], v[4:5]
	s_wait_dscnt 0x6
	v_add_f64_e32 v[4:5], v[14:15], v[30:31]
	v_add_f64_e64 v[8:9], v[30:31], -v[40:41]
	v_add_f64_e32 v[34:35], v[10:11], v[6:7]
	v_fma_f64 v[16:17], v[2:3], s[2:3], v[18:19]
	v_fma_f64 v[20:21], v[2:3], s[12:13], v[18:19]
	v_add_f64_e32 v[2:3], v[30:31], v[40:41]
	v_fma_f64 v[18:19], v[0:1], s[12:13], v[22:23]
	v_fma_f64 v[22:23], v[0:1], s[2:3], v[22:23]
	v_add_f64_e32 v[0:1], v[28:29], v[38:39]
	v_add_f64_e32 v[6:7], v[12:13], v[28:29]
	v_fma_f64 v[2:3], v[2:3], -0.5, v[14:15]
	v_add_f64_e32 v[14:15], v[4:5], v[40:41]
	v_add_f64_e64 v[4:5], v[28:29], -v[38:39]
	v_fma_f64 v[0:1], v[0:1], -0.5, v[12:13]
	v_add_f64_e32 v[12:13], v[6:7], v[38:39]
	s_wait_dscnt 0x5
	v_add_f64_e32 v[6:7], v[44:45], v[48:49]
	s_delay_alu instid0(VALU_DEP_4)
	v_fma_f64 v[30:31], v[4:5], s[12:13], v[2:3]
	v_fma_f64 v[42:43], v[4:5], s[2:3], v[2:3]
	v_add_f64_e32 v[2:3], v[50:51], v[60:61]
	v_add_f64_e32 v[4:5], v[46:47], v[50:51]
	v_fma_f64 v[28:29], v[8:9], s[2:3], v[0:1]
	v_fma_f64 v[40:41], v[8:9], s[12:13], v[0:1]
	v_add_f64_e32 v[0:1], v[48:49], v[58:59]
	v_add_f64_e64 v[8:9], v[50:51], -v[60:61]
	v_fma_f64 v[2:3], v[2:3], -0.5, v[46:47]
	v_add_f64_e32 v[46:47], v[4:5], v[60:61]
	v_add_f64_e64 v[4:5], v[48:49], -v[58:59]
	v_fma_f64 v[0:1], v[0:1], -0.5, v[44:45]
	v_add_f64_e32 v[44:45], v[6:7], v[58:59]
	s_wait_dscnt 0x4
	v_add_f64_e32 v[6:7], v[54:55], v[66:67]
	s_delay_alu instid0(VALU_DEP_4)
	v_fma_f64 v[60:61], v[4:5], s[12:13], v[2:3]
	v_fma_f64 v[64:65], v[4:5], s[2:3], v[2:3]
	v_add_f64_e32 v[2:3], v[68:69], v[74:75]
	v_add_f64_e32 v[4:5], v[56:57], v[68:69]
	v_fma_f64 v[58:59], v[8:9], s[2:3], v[0:1]
	v_fma_f64 v[62:63], v[8:9], s[12:13], v[0:1]
	v_add_f64_e32 v[0:1], v[66:67], v[72:73]
	v_add_f64_e64 v[8:9], v[68:69], -v[74:75]
	v_fma_f64 v[2:3], v[2:3], -0.5, v[56:57]
	v_add_f64_e32 v[56:57], v[4:5], v[74:75]
	v_add_f64_e64 v[4:5], v[66:67], -v[72:73]
	v_add_f64_e64 v[74:75], v[118:119], -v[122:123]
	v_fma_f64 v[0:1], v[0:1], -0.5, v[54:55]
	v_add_f64_e32 v[54:55], v[6:7], v[72:73]
	s_wait_dscnt 0x3
	v_add_f64_e32 v[6:7], v[213:214], v[76:77]
	v_fma_f64 v[207:208], v[4:5], s[12:13], v[2:3]
	v_fma_f64 v[211:212], v[4:5], s[2:3], v[2:3]
	v_add_f64_e32 v[2:3], v[78:79], v[83:84]
	v_add_f64_e32 v[4:5], v[215:216], v[78:79]
	v_fma_f64 v[205:206], v[8:9], s[2:3], v[0:1]
	v_fma_f64 v[209:210], v[8:9], s[12:13], v[0:1]
	v_add_f64_e32 v[0:1], v[76:77], v[81:82]
	v_add_f64_e64 v[8:9], v[78:79], -v[83:84]
	v_fma_f64 v[2:3], v[2:3], -0.5, v[215:216]
	v_add_f64_e32 v[215:216], v[4:5], v[83:84]
	v_add_f64_e64 v[4:5], v[76:77], -v[81:82]
	v_add_f64_e64 v[76:77], v[124:125], -v[128:129]
	v_fma_f64 v[0:1], v[0:1], -0.5, v[213:214]
	v_add_f64_e32 v[213:214], v[6:7], v[81:82]
	s_wait_dscnt 0x2
	v_add_f64_e32 v[6:7], v[217:218], v[85:86]
	v_fma_f64 v[223:224], v[4:5], s[12:13], v[2:3]
	v_fma_f64 v[227:228], v[4:5], s[2:3], v[2:3]
	v_add_f64_e32 v[2:3], v[87:88], v[93:94]
	v_add_f64_e32 v[4:5], v[219:220], v[87:88]
	v_fma_f64 v[221:222], v[8:9], s[2:3], v[0:1]
	v_fma_f64 v[225:226], v[8:9], s[12:13], v[0:1]
	v_add_f64_e32 v[0:1], v[85:86], v[91:92]
	v_add_f64_e64 v[8:9], v[87:88], -v[93:94]
	v_fma_f64 v[2:3], v[2:3], -0.5, v[219:220]
	v_add_f64_e32 v[219:220], v[4:5], v[93:94]
	v_add_f64_e64 v[4:5], v[85:86], -v[91:92]
	v_fma_f64 v[0:1], v[0:1], -0.5, v[217:218]
	v_add_f64_e32 v[217:218], v[6:7], v[91:92]
	s_wait_dscnt 0x1
	v_add_f64_e32 v[6:7], v[237:238], v[97:98]
	s_delay_alu instid0(VALU_DEP_4)
	v_fma_f64 v[231:232], v[4:5], s[12:13], v[2:3]
	v_fma_f64 v[235:236], v[4:5], s[2:3], v[2:3]
	v_add_f64_e32 v[2:3], v[99:100], v[103:104]
	v_add_f64_e32 v[4:5], v[239:240], v[99:100]
	v_fma_f64 v[229:230], v[8:9], s[2:3], v[0:1]
	v_fma_f64 v[233:234], v[8:9], s[12:13], v[0:1]
	v_add_f64_e32 v[0:1], v[97:98], v[101:102]
	v_add_f64_e64 v[8:9], v[99:100], -v[103:104]
	v_fma_f64 v[2:3], v[2:3], -0.5, v[239:240]
	v_add_f64_e32 v[239:240], v[4:5], v[103:104]
	v_add_f64_e64 v[4:5], v[97:98], -v[101:102]
	v_fma_f64 v[0:1], v[0:1], -0.5, v[237:238]
	v_add_f64_e32 v[237:238], v[6:7], v[101:102]
	s_wait_dscnt 0x0
	v_add_f64_e32 v[6:7], v[241:242], v[108:109]
	s_delay_alu instid0(VALU_DEP_4)
	v_fma_f64 v[247:248], v[4:5], s[12:13], v[2:3]
	v_fma_f64 v[251:252], v[4:5], s[2:3], v[2:3]
	v_add_f64_e32 v[2:3], v[110:111], v[114:115]
	v_add_f64_e32 v[4:5], v[243:244], v[110:111]
	v_fma_f64 v[245:246], v[8:9], s[2:3], v[0:1]
	v_fma_f64 v[249:250], v[8:9], s[12:13], v[0:1]
	v_add_f64_e32 v[0:1], v[108:109], v[112:113]
	v_add_f64_e64 v[8:9], v[110:111], -v[114:115]
	v_fma_f64 v[2:3], v[2:3], -0.5, v[243:244]
	v_add_f64_e32 v[243:244], v[4:5], v[114:115]
	v_add_f64_e64 v[4:5], v[108:109], -v[112:113]
	v_fma_f64 v[0:1], v[0:1], -0.5, v[241:242]
	v_add_f64_e32 v[241:242], v[6:7], v[112:113]
	s_delay_alu instid0(VALU_DEP_3)
	v_fma_f64 v[50:51], v[4:5], s[12:13], v[2:3]
	v_fma_f64 v[10:11], v[4:5], s[2:3], v[2:3]
	v_add_f64_e32 v[4:5], v[116:117], v[120:121]
	v_fma_f64 v[48:49], v[8:9], s[2:3], v[0:1]
	v_fma_f64 v[8:9], v[8:9], s[12:13], v[0:1]
	ds_load_b128 v[0:3], v152 offset:10368
	ds_load_b128 v[66:69], v152 offset:11664
	scratch_store_b32 off, v24, off offset:1436 ; 4-byte Folded Spill
	global_wb scope:SCOPE_SE
	s_wait_storecnt_dscnt 0x0
	s_barrier_signal -1
	s_barrier_wait -1
	global_inv scope:SCOPE_SE
	ds_store_b128 v24, v[32:35]
	ds_store_b128 v24, v[16:19] offset:480
	ds_store_b128 v24, v[20:23] offset:960
	v_and_b32_e32 v16, 0xffff, v133
	s_delay_alu instid0(VALU_DEP_1) | instskip(NEXT) | instid1(VALU_DEP_1)
	v_mul_u32_u24_e32 v16, 0x5a, v16
	v_add_lshl_u32 v16, v16, v134, 4
	scratch_store_b32 off, v16, off offset:1432 ; 4-byte Folded Spill
	ds_store_b128 v16, v[12:15]
	ds_store_b128 v16, v[28:31] offset:480
	ds_store_b128 v16, v[40:43] offset:960
	v_and_b32_e32 v12, 0xffff, v135
	s_delay_alu instid0(VALU_DEP_1) | instskip(NEXT) | instid1(VALU_DEP_1)
	v_mul_u32_u24_e32 v12, 0x5a, v12
	v_add_lshl_u32 v12, v12, v136, 4
	v_fma_f64 v[38:39], v[4:5], -0.5, v[0:1]
	v_add_f64_e32 v[4:5], v[118:119], v[122:123]
	v_add_f64_e32 v[0:1], v[0:1], v[116:117]
	scratch_store_b32 off, v12, off offset:1424 ; 4-byte Folded Spill
	ds_store_b128 v12, v[44:47]
	ds_store_b128 v12, v[58:61] offset:480
	ds_store_b128 v12, v[62:65] offset:960
	v_mad_u16 v12, 0x5a, v137, v138
	s_delay_alu instid0(VALU_DEP_1) | instskip(NEXT) | instid1(VALU_DEP_1)
	v_and_b32_e32 v12, 0xffff, v12
	v_lshlrev_b32_e32 v12, 4, v12
	scratch_store_b32 off, v12, off offset:1420 ; 4-byte Folded Spill
	ds_store_b128 v12, v[54:57]
	ds_store_b128 v12, v[205:208] offset:480
	ds_store_b128 v12, v[209:212] offset:960
	v_mad_u16 v12, 0x5a, v139, v140
	s_delay_alu instid0(VALU_DEP_1) | instskip(NEXT) | instid1(VALU_DEP_1)
	v_and_b32_e32 v12, 0xffff, v12
	v_lshlrev_b32_e32 v12, 4, v12
	scratch_store_b32 off, v12, off offset:1416 ; 4-byte Folded Spill
	v_fma_f64 v[72:73], v[4:5], -0.5, v[2:3]
	v_add_f64_e32 v[2:3], v[2:3], v[118:119]
	v_add_f64_e32 v[4:5], v[0:1], v[120:121]
	v_fma_f64 v[0:1], v[74:75], s[12:13], v[38:39]
	ds_store_b128 v12, v[213:216]
	ds_store_b128 v12, v[221:224] offset:480
	ds_store_b128 v12, v[225:228] offset:960
	v_mad_u16 v12, 0x5a, v141, v142
	s_delay_alu instid0(VALU_DEP_1) | instskip(NEXT) | instid1(VALU_DEP_1)
	v_and_b32_e32 v12, 0xffff, v12
	v_lshlrev_b32_e32 v12, 4, v12
	scratch_store_b32 off, v12, off offset:1412 ; 4-byte Folded Spill
	ds_store_b128 v12, v[217:220]
	ds_store_b128 v12, v[229:232] offset:480
	ds_store_b128 v12, v[233:236] offset:960
	v_mad_u16 v12, 0x5a, v143, v144
	s_delay_alu instid0(VALU_DEP_1) | instskip(NEXT) | instid1(VALU_DEP_1)
	v_and_b32_e32 v12, 0xffff, v12
	v_lshlrev_b32_e32 v12, 4, v12
	scratch_store_b32 off, v12, off offset:1408 ; 4-byte Folded Spill
	ds_store_b128 v12, v[237:240]
	ds_store_b128 v12, v[245:248] offset:480
	ds_store_b128 v12, v[249:252] offset:960
	v_add_f64_e32 v[6:7], v[2:3], v[122:123]
	v_add_f64_e64 v[2:3], v[116:117], -v[120:121]
	v_fma_f64 v[116:117], v[74:75], s[2:3], v[38:39]
	v_add_f64_e32 v[38:39], v[124:125], v[128:129]
	v_add_f64_e64 v[74:75], v[126:127], -v[130:131]
	v_mad_u16 v12, 0x5a, v145, v146
	s_delay_alu instid0(VALU_DEP_1) | instskip(NEXT) | instid1(VALU_DEP_1)
	v_and_b32_e32 v12, 0xffff, v12
	v_lshlrev_b32_e32 v12, 4, v12
	scratch_store_b32 off, v12, off offset:1404 ; 4-byte Folded Spill
	ds_store_b128 v12, v[241:244]
	ds_store_b128 v12, v[48:51] offset:480
	ds_store_b128 v12, v[8:11] offset:960
	v_mad_u16 v8, 0x5a, v147, v148
	s_delay_alu instid0(VALU_DEP_1) | instskip(NEXT) | instid1(VALU_DEP_1)
	v_and_b32_e32 v8, 0xffff, v8
	v_lshlrev_b32_e32 v8, 4, v8
	scratch_store_b32 off, v8, off offset:1400 ; 4-byte Folded Spill
	v_fma_f64 v[118:119], v[2:3], s[12:13], v[72:73]
	v_fma_f64 v[2:3], v[2:3], s[2:3], v[72:73]
	v_add_f64_e32 v[72:73], v[126:127], v[130:131]
	v_fma_f64 v[38:39], v[38:39], -0.5, v[66:67]
	v_add_f64_e32 v[66:67], v[66:67], v[124:125]
	ds_store_b128 v8, v[4:7]
	ds_store_b128 v8, v[116:119] offset:480
	ds_store_b128 v8, v[0:3] offset:960
	v_mad_u16 v0, 0x5a, v149, v150
	v_fma_f64 v[72:73], v[72:73], -0.5, v[68:69]
	v_add_f64_e32 v[68:69], v[68:69], v[126:127]
	v_add_f64_e32 v[66:67], v[66:67], v[128:129]
	v_fma_f64 v[120:121], v[74:75], s[2:3], v[38:39]
	v_fma_f64 v[109:110], v[74:75], s[12:13], v[38:39]
	v_and_b32_e32 v0, 0xffff, v0
	s_delay_alu instid0(VALU_DEP_1)
	v_lshlrev_b32_e32 v0, 4, v0
	scratch_store_b32 off, v0, off offset:1396 ; 4-byte Folded Spill
	v_fma_f64 v[122:123], v[76:77], s[12:13], v[72:73]
	v_add_f64_e32 v[68:69], v[68:69], v[130:131]
	v_fma_f64 v[111:112], v[76:77], s[2:3], v[72:73]
	ds_store_b128 v0, v[66:69]
	ds_store_b128 v0, v[120:123] offset:480
	ds_store_b128 v0, v[109:112] offset:960
	v_lshlrev_b32_e32 v69, 5, v189
	global_wb scope:SCOPE_SE
	s_wait_storecnt_dscnt 0x0
	s_barrier_signal -1
	s_barrier_wait -1
	global_inv scope:SCOPE_SE
	s_clause 0x1
	global_load_b128 v[15:18], v69, s[10:11] offset:1280
	global_load_b128 v[21:24], v69, s[10:11] offset:1296
	s_wait_loadcnt 0x1
	scratch_store_b128 off, v[15:18], off offset:1280 ; 16-byte Folded Spill
	s_wait_loadcnt 0x0
	scratch_store_b128 off, v[21:24], off offset:1248 ; 16-byte Folded Spill
	ds_load_b128 v[0:3], v152 offset:12960
	ds_load_b128 v[4:7], v152 offset:14256
	s_wait_dscnt 0x1
	v_mul_f64_e32 v[8:9], v[2:3], v[17:18]
	s_delay_alu instid0(VALU_DEP_1) | instskip(SKIP_1) | instid1(VALU_DEP_1)
	v_fma_f64 v[13:14], v[0:1], v[15:16], -v[8:9]
	v_mul_f64_e32 v[0:1], v[0:1], v[17:18]
	v_fma_f64 v[15:16], v[2:3], v[15:16], v[0:1]
	ds_load_b128 v[0:3], v152 offset:25920
	ds_load_b128 v[9:12], v152 offset:27216
	s_wait_dscnt 0x1
	v_mul_f64_e32 v[17:18], v[2:3], v[23:24]
	s_delay_alu instid0(VALU_DEP_1) | instskip(SKIP_1) | instid1(VALU_DEP_1)
	v_fma_f64 v[17:18], v[0:1], v[21:22], -v[17:18]
	v_mul_f64_e32 v[0:1], v[0:1], v[23:24]
	v_fma_f64 v[19:20], v[2:3], v[21:22], v[0:1]
	v_add_co_u32 v0, s30, v189, -9
	s_wait_alu 0xf1ff
	v_add_co_ci_u32_e64 v1, null, 0, -1, s30
	s_wait_alu 0xfffd
	s_delay_alu instid0(VALU_DEP_2) | instskip(NEXT) | instid1(VALU_DEP_2)
	v_cndmask_b32_e32 v118, v0, v151, vcc_lo
	v_cndmask_b32_e32 v119, v1, v107, vcc_lo
	s_delay_alu instid0(VALU_DEP_1) | instskip(NEXT) | instid1(VALU_DEP_1)
	v_lshlrev_b64_e32 v[0:1], 5, v[118:119]
	v_add_co_u32 v0, vcc_lo, s10, v0
	s_wait_alu 0xfffd
	s_delay_alu instid0(VALU_DEP_2)
	v_add_co_ci_u32_e32 v1, vcc_lo, s11, v1, vcc_lo
	v_cmp_lt_u16_e64 vcc_lo, 8, v204
	s_clause 0x1
	global_load_b128 v[32:35], v[0:1], off offset:1280
	global_load_b128 v[28:31], v[0:1], off offset:1296
	s_wait_loadcnt 0x1
	v_mul_f64_e32 v[0:1], v[6:7], v[34:35]
	scratch_store_b128 off, v[32:35], off offset:1328 ; 16-byte Folded Spill
	v_fma_f64 v[21:22], v[4:5], v[32:33], -v[0:1]
	v_mul_f64_e32 v[0:1], v[4:5], v[34:35]
	s_wait_loadcnt 0x0
	v_mov_b32_e32 v2, v28
	v_dual_mov_b32 v4, v30 :: v_dual_mov_b32 v5, v31
	v_mov_b32_e32 v3, v29
	s_delay_alu instid0(VALU_DEP_4) | instskip(SKIP_1) | instid1(VALU_DEP_3)
	v_fma_f64 v[23:24], v[6:7], v[32:33], v[0:1]
	s_wait_dscnt 0x0
	v_mul_f64_e32 v[0:1], v[11:12], v[4:5]
	s_delay_alu instid0(VALU_DEP_1) | instskip(SKIP_1) | instid1(VALU_DEP_1)
	v_fma_f64 v[28:29], v[9:10], v[2:3], -v[0:1]
	v_mul_f64_e32 v[0:1], v[9:10], v[4:5]
	v_fma_f64 v[30:31], v[11:12], v[2:3], v[0:1]
	v_mul_lo_u16 v0, 0xb7, v37
	s_delay_alu instid0(VALU_DEP_1) | instskip(NEXT) | instid1(VALU_DEP_1)
	v_lshrrev_b16 v119, 14, v0
	v_mul_lo_u16 v0, 0x5a, v119
	s_delay_alu instid0(VALU_DEP_1) | instskip(NEXT) | instid1(VALU_DEP_1)
	v_sub_nc_u16 v0, v71, v0
	v_and_b32_e32 v157, 0xff, v0
	s_delay_alu instid0(VALU_DEP_1)
	v_lshlrev_b32_e32 v0, 5, v157
	s_clause 0x1
	global_load_b128 v[32:35], v0, s[10:11] offset:1280
	global_load_b128 v[37:40], v0, s[10:11] offset:1296
	s_clause 0x1
	scratch_store_b32 off, v171, off offset:1132
	scratch_store_b128 off, v[2:5], off offset:1344
	s_wait_loadcnt 0x1
	scratch_store_b128 off, v[32:35], off offset:1296 ; 16-byte Folded Spill
	s_wait_loadcnt 0x0
	scratch_store_b128 off, v[37:40], off offset:1264 ; 16-byte Folded Spill
	ds_load_b128 v[0:3], v152 offset:15552
	ds_load_b128 v[4:7], v152 offset:16848
	s_wait_dscnt 0x1
	v_mul_f64_e32 v[8:9], v[2:3], v[34:35]
	s_delay_alu instid0(VALU_DEP_1) | instskip(SKIP_1) | instid1(VALU_DEP_1)
	v_fma_f64 v[44:45], v[0:1], v[32:33], -v[8:9]
	v_mul_f64_e32 v[0:1], v[0:1], v[34:35]
	v_fma_f64 v[46:47], v[2:3], v[32:33], v[0:1]
	ds_load_b128 v[0:3], v152 offset:28512
	ds_load_b128 v[9:12], v152 offset:29808
	s_wait_dscnt 0x1
	v_mul_f64_e32 v[32:33], v[2:3], v[39:40]
	s_delay_alu instid0(VALU_DEP_1) | instskip(SKIP_1) | instid1(VALU_DEP_1)
	v_fma_f64 v[48:49], v[0:1], v[37:38], -v[32:33]
	v_mul_f64_e32 v[0:1], v[0:1], v[39:40]
	v_fma_f64 v[50:51], v[2:3], v[37:38], v[0:1]
	v_mul_u32_u24_e32 v0, 0x2d83, v53
	s_delay_alu instid0(VALU_DEP_1) | instskip(NEXT) | instid1(VALU_DEP_1)
	v_lshrrev_b32_e32 v158, 20, v0
	v_mul_lo_u16 v0, 0x5a, v158
	s_delay_alu instid0(VALU_DEP_1) | instskip(NEXT) | instid1(VALU_DEP_1)
	v_sub_nc_u16 v159, v89, v0
	v_lshlrev_b16 v0, 5, v159
	s_delay_alu instid0(VALU_DEP_1) | instskip(NEXT) | instid1(VALU_DEP_1)
	v_and_b32_e32 v0, 0xffff, v0
	v_add_co_u32 v0, s30, s10, v0
	s_wait_alu 0xf1ff
	v_add_co_ci_u32_e64 v1, null, s11, 0, s30
	s_clause 0x1
	global_load_b128 v[240:243], v[0:1], off offset:1280
	global_load_b128 v[32:35], v[0:1], off offset:1296
	s_wait_loadcnt 0x1
	v_mul_f64_e32 v[0:1], v[6:7], v[242:243]
	s_wait_loadcnt 0x0
	scratch_store_b128 off, v[32:35], off offset:1376 ; 16-byte Folded Spill
	v_fma_f64 v[53:54], v[4:5], v[240:241], -v[0:1]
	v_mul_f64_e32 v[0:1], v[4:5], v[242:243]
	s_delay_alu instid0(VALU_DEP_1) | instskip(SKIP_2) | instid1(VALU_DEP_1)
	v_fma_f64 v[55:56], v[6:7], v[240:241], v[0:1]
	s_wait_dscnt 0x0
	v_mul_f64_e32 v[0:1], v[11:12], v[34:35]
	v_fma_f64 v[57:58], v[9:10], v[32:33], -v[0:1]
	v_mul_f64_e32 v[0:1], v[9:10], v[34:35]
	s_delay_alu instid0(VALU_DEP_1) | instskip(SKIP_1) | instid1(VALU_DEP_1)
	v_fma_f64 v[59:60], v[11:12], v[32:33], v[0:1]
	v_mul_u32_u24_e32 v0, 0x2d83, v36
	v_lshrrev_b32_e32 v160, 20, v0
	s_delay_alu instid0(VALU_DEP_1) | instskip(NEXT) | instid1(VALU_DEP_1)
	v_mul_lo_u16 v0, 0x5a, v160
	v_sub_nc_u16 v161, v70, v0
	s_delay_alu instid0(VALU_DEP_1) | instskip(NEXT) | instid1(VALU_DEP_1)
	v_lshlrev_b16 v0, 5, v161
	v_and_b32_e32 v0, 0xffff, v0
	s_delay_alu instid0(VALU_DEP_1)
	v_add_co_u32 v0, s30, s10, v0
	s_wait_alu 0xf1ff
	v_add_co_ci_u32_e64 v1, null, s11, 0, s30
	s_clause 0x1
	global_load_b128 v[248:251], v[0:1], off offset:1280
	global_load_b128 v[34:37], v[0:1], off offset:1296
	s_wait_loadcnt 0x0
	scratch_store_b128 off, v[34:37], off offset:1312 ; 16-byte Folded Spill
	ds_load_b128 v[0:3], v152 offset:18144
	ds_load_b128 v[4:7], v152 offset:19440
	s_wait_dscnt 0x1
	v_mul_f64_e32 v[8:9], v[2:3], v[250:251]
	s_delay_alu instid0(VALU_DEP_1) | instskip(SKIP_1) | instid1(VALU_DEP_1)
	v_fma_f64 v[72:73], v[0:1], v[248:249], -v[8:9]
	v_mul_f64_e32 v[0:1], v[0:1], v[250:251]
	v_fma_f64 v[74:75], v[2:3], v[248:249], v[0:1]
	ds_load_b128 v[0:3], v152 offset:31104
	ds_load_b128 v[9:12], v152 offset:32400
	s_wait_dscnt 0x1
	v_mul_f64_e32 v[32:33], v[2:3], v[36:37]
	s_delay_alu instid0(VALU_DEP_1) | instskip(SKIP_1) | instid1(VALU_DEP_1)
	v_fma_f64 v[81:82], v[0:1], v[34:35], -v[32:33]
	v_mul_f64_e32 v[0:1], v[0:1], v[36:37]
	v_fma_f64 v[83:84], v[2:3], v[34:35], v[0:1]
	v_mul_u32_u24_e32 v0, 0x2d83, v106
	s_delay_alu instid0(VALU_DEP_1) | instskip(NEXT) | instid1(VALU_DEP_1)
	v_lshrrev_b32_e32 v162, 20, v0
	v_mul_lo_u16 v0, 0x5a, v162
	s_delay_alu instid0(VALU_DEP_1) | instskip(NEXT) | instid1(VALU_DEP_1)
	v_sub_nc_u16 v163, v105, v0
	v_lshlrev_b16 v0, 5, v163
	s_delay_alu instid0(VALU_DEP_1) | instskip(NEXT) | instid1(VALU_DEP_1)
	v_and_b32_e32 v0, 0xffff, v0
	v_add_co_u32 v0, s30, s10, v0
	s_wait_alu 0xf1ff
	v_add_co_ci_u32_e64 v1, null, s11, 0, s30
	s_clause 0x1
	global_load_b128 v[228:231], v[0:1], off offset:1280
	global_load_b128 v[232:235], v[0:1], off offset:1296
	s_wait_loadcnt 0x1
	v_mul_f64_e32 v[0:1], v[6:7], v[230:231]
	s_delay_alu instid0(VALU_DEP_1) | instskip(SKIP_1) | instid1(VALU_DEP_1)
	v_fma_f64 v[85:86], v[4:5], v[228:229], -v[0:1]
	v_mul_f64_e32 v[0:1], v[4:5], v[230:231]
	v_fma_f64 v[87:88], v[6:7], v[228:229], v[0:1]
	s_wait_loadcnt_dscnt 0x0
	v_mul_f64_e32 v[0:1], v[11:12], v[234:235]
	s_delay_alu instid0(VALU_DEP_1) | instskip(SKIP_1) | instid1(VALU_DEP_1)
	v_fma_f64 v[91:92], v[9:10], v[232:233], -v[0:1]
	v_mul_f64_e32 v[0:1], v[9:10], v[234:235]
	v_fma_f64 v[93:94], v[11:12], v[232:233], v[0:1]
	v_mul_u32_u24_e32 v0, 0x2d83, v80
	s_delay_alu instid0(VALU_DEP_1) | instskip(NEXT) | instid1(VALU_DEP_1)
	v_lshrrev_b32_e32 v164, 20, v0
	v_mul_lo_u16 v0, 0x5a, v164
	s_delay_alu instid0(VALU_DEP_1) | instskip(NEXT) | instid1(VALU_DEP_1)
	v_sub_nc_u16 v165, v25, v0
	v_lshlrev_b16 v0, 5, v165
	s_delay_alu instid0(VALU_DEP_1) | instskip(NEXT) | instid1(VALU_DEP_1)
	v_and_b32_e32 v0, 0xffff, v0
	v_add_co_u32 v0, s30, s10, v0
	s_wait_alu 0xf1ff
	v_add_co_ci_u32_e64 v1, null, s11, 0, s30
	s_clause 0x1
	global_load_b128 v[236:239], v[0:1], off offset:1280
	global_load_b128 v[34:37], v[0:1], off offset:1296
	s_wait_loadcnt 0x0
	scratch_store_b128 off, v[34:37], off offset:1360 ; 16-byte Folded Spill
	ds_load_b128 v[0:3], v152 offset:20736
	ds_load_b128 v[4:7], v152 offset:22032
	s_wait_dscnt 0x1
	v_mul_f64_e32 v[8:9], v[2:3], v[238:239]
	s_delay_alu instid0(VALU_DEP_1) | instskip(SKIP_1) | instid1(VALU_DEP_1)
	v_fma_f64 v[101:102], v[0:1], v[236:237], -v[8:9]
	v_mul_f64_e32 v[0:1], v[0:1], v[238:239]
	v_fma_f64 v[103:104], v[2:3], v[236:237], v[0:1]
	ds_load_b128 v[0:3], v152 offset:33696
	ds_load_b128 v[9:12], v152 offset:34992
	s_wait_dscnt 0x1
	v_mul_f64_e32 v[32:33], v[2:3], v[36:37]
	s_delay_alu instid0(VALU_DEP_1) | instskip(SKIP_1) | instid1(VALU_DEP_1)
	v_fma_f64 v[110:111], v[0:1], v[34:35], -v[32:33]
	v_mul_f64_e32 v[0:1], v[0:1], v[36:37]
	v_fma_f64 v[112:113], v[2:3], v[34:35], v[0:1]
	v_mul_u32_u24_e32 v0, 0x2d83, v96
	s_delay_alu instid0(VALU_DEP_1) | instskip(NEXT) | instid1(VALU_DEP_1)
	v_lshrrev_b32_e32 v166, 20, v0
	v_mul_lo_u16 v0, 0x5a, v166
	s_delay_alu instid0(VALU_DEP_1) | instskip(NEXT) | instid1(VALU_DEP_1)
	v_sub_nc_u16 v167, v27, v0
	v_lshlrev_b16 v0, 5, v167
	s_delay_alu instid0(VALU_DEP_1) | instskip(NEXT) | instid1(VALU_DEP_1)
	v_and_b32_e32 v0, 0xffff, v0
	v_add_co_u32 v0, s30, s10, v0
	s_wait_alu 0xf1ff
	v_add_co_ci_u32_e64 v1, null, s11, 0, s30
	s_clause 0x1
	global_load_b128 v[213:216], v[0:1], off offset:1280
	global_load_b128 v[224:227], v[0:1], off offset:1296
	s_wait_loadcnt 0x1
	v_mul_f64_e32 v[0:1], v[6:7], v[215:216]
	s_delay_alu instid0(VALU_DEP_1) | instskip(SKIP_1) | instid1(VALU_DEP_1)
	v_fma_f64 v[132:133], v[4:5], v[213:214], -v[0:1]
	v_mul_f64_e32 v[0:1], v[4:5], v[215:216]
	v_fma_f64 v[134:135], v[6:7], v[213:214], v[0:1]
	s_wait_loadcnt_dscnt 0x0
	v_mul_f64_e32 v[0:1], v[11:12], v[226:227]
	s_delay_alu instid0(VALU_DEP_1) | instskip(SKIP_1) | instid1(VALU_DEP_1)
	v_fma_f64 v[136:137], v[9:10], v[224:225], -v[0:1]
	v_mul_f64_e32 v[0:1], v[9:10], v[226:227]
	v_fma_f64 v[138:139], v[11:12], v[224:225], v[0:1]
	v_mul_u32_u24_e32 v0, 0x2d83, v95
	s_delay_alu instid0(VALU_DEP_1) | instskip(NEXT) | instid1(VALU_DEP_1)
	v_lshrrev_b32_e32 v168, 20, v0
	v_mul_lo_u16 v0, 0x5a, v168
	s_delay_alu instid0(VALU_DEP_1) | instskip(NEXT) | instid1(VALU_DEP_1)
	v_sub_nc_u16 v169, v26, v0
	v_lshlrev_b16 v0, 5, v169
	s_delay_alu instid0(VALU_DEP_1) | instskip(NEXT) | instid1(VALU_DEP_1)
	v_and_b32_e32 v0, 0xffff, v0
	v_add_co_u32 v0, s30, s10, v0
	s_wait_alu 0xf1ff
	v_add_co_ci_u32_e64 v1, null, s11, 0, s30
	s_clause 0x1
	global_load_b128 v[220:223], v[0:1], off offset:1280
	global_load_b128 v[244:247], v[0:1], off offset:1296
	ds_load_b128 v[0:3], v152 offset:23328
	ds_load_b128 v[4:7], v152 offset:24624
	s_wait_loadcnt_dscnt 0x101
	v_mul_f64_e32 v[8:9], v[2:3], v[222:223]
	s_delay_alu instid0(VALU_DEP_1) | instskip(SKIP_1) | instid1(VALU_DEP_1)
	v_fma_f64 v[140:141], v[0:1], v[220:221], -v[8:9]
	v_mul_f64_e32 v[0:1], v[0:1], v[222:223]
	v_fma_f64 v[142:143], v[2:3], v[220:221], v[0:1]
	ds_load_b128 v[0:3], v152 offset:36288
	ds_load_b128 v[9:12], v152 offset:37584
	s_wait_loadcnt_dscnt 0x1
	v_mul_f64_e32 v[32:33], v[2:3], v[246:247]
	s_delay_alu instid0(VALU_DEP_1) | instskip(SKIP_1) | instid1(VALU_DEP_1)
	v_fma_f64 v[144:145], v[0:1], v[244:245], -v[32:33]
	v_mul_f64_e32 v[0:1], v[0:1], v[246:247]
	v_fma_f64 v[146:147], v[2:3], v[244:245], v[0:1]
	v_mul_u32_u24_e32 v0, 0x2d83, v90
	s_delay_alu instid0(VALU_DEP_1) | instskip(NEXT) | instid1(VALU_DEP_1)
	v_lshrrev_b32_e32 v0, 20, v0
	v_mul_lo_u16 v0, 0x5a, v0
	s_delay_alu instid0(VALU_DEP_1) | instskip(NEXT) | instid1(VALU_DEP_1)
	v_sub_nc_u16 v170, v52, v0
	v_lshlrev_b16 v0, 5, v170
	s_delay_alu instid0(VALU_DEP_1) | instskip(NEXT) | instid1(VALU_DEP_1)
	v_and_b32_e32 v0, 0xffff, v0
	v_add_co_u32 v0, s30, s10, v0
	s_wait_alu 0xf1ff
	v_add_co_ci_u32_e64 v1, null, s11, 0, s30
	s_clause 0x1
	global_load_b128 v[205:208], v[0:1], off offset:1280
	global_load_b128 v[209:212], v[0:1], off offset:1296
	s_wait_loadcnt 0x1
	v_mul_f64_e32 v[0:1], v[6:7], v[207:208]
	s_delay_alu instid0(VALU_DEP_1) | instskip(SKIP_1) | instid1(VALU_DEP_1)
	v_fma_f64 v[148:149], v[4:5], v[205:206], -v[0:1]
	v_mul_f64_e32 v[0:1], v[4:5], v[207:208]
	v_fma_f64 v[150:151], v[6:7], v[205:206], v[0:1]
	s_wait_loadcnt_dscnt 0x0
	v_mul_f64_e32 v[0:1], v[11:12], v[211:212]
	s_delay_alu instid0(VALU_DEP_1) | instskip(SKIP_2) | instid1(VALU_DEP_2)
	v_fma_f64 v[153:154], v[9:10], v[209:210], -v[0:1]
	v_mul_f64_e32 v[0:1], v[9:10], v[211:212]
	v_add_f64_e32 v[8:9], v[13:14], v[17:18]
	v_fma_f64 v[155:156], v[11:12], v[209:210], v[0:1]
	ds_load_b128 v[0:3], v152
	ds_load_b128 v[4:7], v152 offset:1296
	v_add_f64_e32 v[10:11], v[15:16], v[19:20]
	ds_load_b128 v[32:35], v152 offset:2592
	ds_load_b128 v[40:43], v152 offset:3888
	;; [unrolled: 1-line block ×4, first 2 shown]
	s_wait_dscnt 0x5
	v_fma_f64 v[8:9], v[8:9], -0.5, v[0:1]
	v_add_f64_e32 v[0:1], v[0:1], v[13:14]
	v_fma_f64 v[10:11], v[10:11], -0.5, v[2:3]
	v_add_f64_e32 v[2:3], v[2:3], v[15:16]
	v_add_f64_e64 v[15:16], v[15:16], -v[19:20]
	s_delay_alu instid0(VALU_DEP_4) | instskip(SKIP_1) | instid1(VALU_DEP_4)
	v_add_f64_e32 v[128:129], v[0:1], v[17:18]
	v_add_f64_e64 v[0:1], v[13:14], -v[17:18]
	v_add_f64_e32 v[130:131], v[2:3], v[19:20]
	s_delay_alu instid0(VALU_DEP_4)
	v_fma_f64 v[114:115], v[15:16], s[2:3], v[8:9]
	v_fma_f64 v[124:125], v[15:16], s[12:13], v[8:9]
	v_add_f64_e32 v[2:3], v[23:24], v[30:31]
	v_add_f64_e64 v[8:9], v[23:24], -v[30:31]
	v_fma_f64 v[116:117], v[0:1], s[12:13], v[10:11]
	v_fma_f64 v[126:127], v[0:1], s[2:3], v[10:11]
	v_add_f64_e32 v[0:1], v[21:22], v[28:29]
	v_add_f64_e64 v[10:11], v[142:143], -v[146:147]
	s_wait_dscnt 0x4
	v_fma_f64 v[2:3], v[2:3], -0.5, v[6:7]
	v_add_f64_e32 v[6:7], v[6:7], v[23:24]
	s_wait_alu 0xfffd
	v_cndmask_b32_e64 v24, 0, 0x10e, vcc_lo
	v_cmp_gt_u16_e64 vcc_lo, 27, v204
	s_delay_alu instid0(VALU_DEP_2)
	v_add_lshl_u32 v24, v118, v24, 4
	v_fma_f64 v[0:1], v[0:1], -0.5, v[4:5]
	v_add_f64_e32 v[4:5], v[4:5], v[21:22]
	v_add_f64_e32 v[78:79], v[6:7], v[30:31]
	s_wait_dscnt 0x3
	v_add_f64_e32 v[6:7], v[32:33], v[44:45]
	s_delay_alu instid0(VALU_DEP_4) | instskip(NEXT) | instid1(VALU_DEP_4)
	v_fma_f64 v[36:37], v[8:9], s[2:3], v[0:1]
	v_add_f64_e32 v[76:77], v[4:5], v[28:29]
	v_add_f64_e64 v[4:5], v[21:22], -v[28:29]
	v_fma_f64 v[28:29], v[8:9], s[12:13], v[0:1]
	v_add_f64_e32 v[0:1], v[44:45], v[48:49]
	v_add_f64_e64 v[8:9], v[46:47], -v[50:51]
	s_delay_alu instid0(VALU_DEP_4) | instskip(SKIP_1) | instid1(VALU_DEP_4)
	v_fma_f64 v[38:39], v[4:5], s[12:13], v[2:3]
	v_fma_f64 v[30:31], v[4:5], s[2:3], v[2:3]
	v_fma_f64 v[0:1], v[0:1], -0.5, v[32:33]
	v_add_f64_e32 v[2:3], v[46:47], v[50:51]
	v_add_f64_e32 v[4:5], v[34:35], v[46:47]
	;; [unrolled: 1-line block ×3, first 2 shown]
	s_wait_dscnt 0x2
	v_add_f64_e32 v[6:7], v[40:41], v[53:54]
	s_delay_alu instid0(VALU_DEP_4) | instskip(NEXT) | instid1(VALU_DEP_4)
	v_fma_f64 v[2:3], v[2:3], -0.5, v[34:35]
	v_add_f64_e32 v[34:35], v[4:5], v[50:51]
	v_add_f64_e64 v[4:5], v[44:45], -v[48:49]
	v_fma_f64 v[44:45], v[8:9], s[2:3], v[0:1]
	v_fma_f64 v[48:49], v[8:9], s[12:13], v[0:1]
	v_add_f64_e32 v[0:1], v[53:54], v[57:58]
	v_add_f64_e64 v[8:9], v[55:56], -v[59:60]
	v_fma_f64 v[46:47], v[4:5], s[12:13], v[2:3]
	v_fma_f64 v[50:51], v[4:5], s[2:3], v[2:3]
	v_add_f64_e32 v[2:3], v[55:56], v[59:60]
	v_fma_f64 v[0:1], v[0:1], -0.5, v[40:41]
	v_add_f64_e32 v[4:5], v[42:43], v[55:56]
	v_add_f64_e32 v[40:41], v[6:7], v[57:58]
	s_wait_dscnt 0x1
	v_add_f64_e32 v[6:7], v[61:62], v[72:73]
	v_fma_f64 v[2:3], v[2:3], -0.5, v[42:43]
	s_delay_alu instid0(VALU_DEP_4)
	v_add_f64_e32 v[42:43], v[4:5], v[59:60]
	v_add_f64_e64 v[4:5], v[53:54], -v[57:58]
	v_fma_f64 v[53:54], v[8:9], s[2:3], v[0:1]
	v_fma_f64 v[57:58], v[8:9], s[12:13], v[0:1]
	v_add_f64_e32 v[0:1], v[72:73], v[81:82]
	v_add_f64_e64 v[8:9], v[74:75], -v[83:84]
	v_fma_f64 v[55:56], v[4:5], s[12:13], v[2:3]
	v_fma_f64 v[59:60], v[4:5], s[2:3], v[2:3]
	v_add_f64_e32 v[2:3], v[74:75], v[83:84]
	v_fma_f64 v[0:1], v[0:1], -0.5, v[61:62]
	v_add_f64_e32 v[4:5], v[63:64], v[74:75]
	v_add_f64_e32 v[61:62], v[6:7], v[81:82]
	s_wait_dscnt 0x0
	v_add_f64_e32 v[6:7], v[65:66], v[85:86]
	v_fma_f64 v[2:3], v[2:3], -0.5, v[63:64]
	v_fma_f64 v[106:107], v[8:9], s[2:3], v[0:1]
	v_add_f64_e32 v[63:64], v[4:5], v[83:84]
	v_add_f64_e64 v[4:5], v[72:73], -v[81:82]
	v_fma_f64 v[120:121], v[8:9], s[12:13], v[0:1]
	v_add_f64_e32 v[0:1], v[85:86], v[91:92]
	v_add_f64_e64 v[8:9], v[87:88], -v[93:94]
	ds_load_b128 v[72:75], v152 offset:7776
	ds_load_b128 v[97:100], v152 offset:9072
	v_fma_f64 v[108:109], v[4:5], s[12:13], v[2:3]
	v_fma_f64 v[122:123], v[4:5], s[2:3], v[2:3]
	v_fma_f64 v[0:1], v[0:1], -0.5, v[65:66]
	v_add_f64_e32 v[2:3], v[87:88], v[93:94]
	v_add_f64_e32 v[4:5], v[67:68], v[87:88]
	;; [unrolled: 1-line block ×3, first 2 shown]
	s_wait_dscnt 0x1
	v_add_f64_e32 v[6:7], v[72:73], v[101:102]
	v_fma_f64 v[20:21], v[8:9], s[2:3], v[0:1]
	v_fma_f64 v[2:3], v[2:3], -0.5, v[67:68]
	v_add_f64_e32 v[67:68], v[4:5], v[93:94]
	v_add_f64_e64 v[4:5], v[85:86], -v[91:92]
	v_fma_f64 v[252:253], v[8:9], s[12:13], v[0:1]
	v_add_f64_e32 v[0:1], v[101:102], v[110:111]
	v_add_f64_e64 v[8:9], v[103:104], -v[112:113]
	ds_load_b128 v[85:88], v152 offset:10368
	ds_load_b128 v[81:84], v152 offset:11664
	global_wb scope:SCOPE_SE
	s_wait_storecnt_dscnt 0x0
	s_barrier_signal -1
	s_barrier_wait -1
	global_inv scope:SCOPE_SE
	ds_store_b128 v152, v[128:131]
	ds_store_b128 v152, v[114:117] offset:1440
	ds_store_b128 v152, v[124:127] offset:2880
	scratch_store_b32 off, v24, off offset:1148 ; 4-byte Folded Spill
	ds_store_b128 v24, v[76:79]
	ds_store_b128 v24, v[36:39] offset:1440
	ds_store_b128 v24, v[28:31] offset:2880
	v_and_b32_e32 v24, 0xffff, v119
	s_delay_alu instid0(VALU_DEP_1) | instskip(NEXT) | instid1(VALU_DEP_1)
	v_mul_u32_u24_e32 v24, 0x10e, v24
	v_add_lshl_u32 v24, v24, v157, 4
	scratch_store_b32 off, v24, off offset:1144 ; 4-byte Folded Spill
	ds_store_b128 v24, v[32:35]
	ds_store_b128 v24, v[44:47] offset:1440
	ds_store_b128 v24, v[48:51] offset:2880
	v_mad_u16 v24, 0x10e, v158, v159
	s_delay_alu instid0(VALU_DEP_1)
	v_and_b32_e32 v24, 0xffff, v24
	v_fma_f64 v[22:23], v[4:5], s[12:13], v[2:3]
	v_fma_f64 v[254:255], v[4:5], s[2:3], v[2:3]
	v_fma_f64 v[0:1], v[0:1], -0.5, v[72:73]
	v_add_f64_e32 v[2:3], v[103:104], v[112:113]
	v_add_f64_e32 v[4:5], v[74:75], v[103:104]
	;; [unrolled: 1-line block ×4, first 2 shown]
	v_lshlrev_b32_e32 v24, 4, v24
	scratch_store_b32 off, v24, off offset:1140 ; 4-byte Folded Spill
	ds_store_b128 v24, v[40:43]
	ds_store_b128 v24, v[53:56] offset:1440
	ds_store_b128 v24, v[57:60] offset:2880
	v_mad_u16 v24, 0x10e, v160, v161
	s_delay_alu instid0(VALU_DEP_1) | instskip(NEXT) | instid1(VALU_DEP_1)
	v_and_b32_e32 v24, 0xffff, v24
	v_lshlrev_b32_e32 v24, 4, v24
	scratch_store_b32 off, v24, off offset:1136 ; 4-byte Folded Spill
	ds_store_b128 v24, v[61:64]
	ds_store_b128 v24, v[106:109] offset:1440
	ds_store_b128 v24, v[120:123] offset:2880
	v_mad_u16 v24, 0x10e, v162, v163
	s_delay_alu instid0(VALU_DEP_1)
	v_and_b32_e32 v24, 0xffff, v24
	v_fma_f64 v[91:92], v[8:9], s[12:13], v[0:1]
	v_fma_f64 v[2:3], v[2:3], -0.5, v[74:75]
	v_add_f64_e32 v[74:75], v[4:5], v[112:113]
	v_add_f64_e64 v[4:5], v[101:102], -v[110:111]
	v_fma_f64 v[101:102], v[8:9], s[2:3], v[0:1]
	v_add_f64_e32 v[0:1], v[132:133], v[136:137]
	v_add_f64_e64 v[8:9], v[134:135], -v[138:139]
	v_lshlrev_b32_e32 v189, 4, v24
	ds_store_b128 v189, v[65:68]
	ds_store_b128 v189, v[20:23] offset:1440
	ds_store_b128 v189, v[252:255] offset:2880
	v_mad_u16 v20, 0x10e, v164, v165
	v_lshlrev_b32_e32 v23, 5, v71
	s_delay_alu instid0(VALU_DEP_2) | instskip(NEXT) | instid1(VALU_DEP_1)
	v_and_b32_e32 v20, 0xffff, v20
	v_lshlrev_b32_e32 v219, 4, v20
	v_mad_u16 v20, 0x10e, v166, v167
	s_delay_alu instid0(VALU_DEP_1) | instskip(NEXT) | instid1(VALU_DEP_1)
	v_and_b32_e32 v20, 0xffff, v20
	v_lshlrev_b32_e32 v218, 4, v20
	v_fma_f64 v[103:104], v[4:5], s[12:13], v[2:3]
	v_fma_f64 v[93:94], v[4:5], s[2:3], v[2:3]
	v_fma_f64 v[0:1], v[0:1], -0.5, v[97:98]
	v_add_f64_e32 v[2:3], v[134:135], v[138:139]
	v_add_f64_e32 v[4:5], v[99:100], v[134:135]
	;; [unrolled: 1-line block ×4, first 2 shown]
	v_add_f64_e64 v[134:135], v[148:149], -v[153:154]
	ds_store_b128 v219, v[72:75]
	ds_store_b128 v219, v[101:104] offset:1440
	ds_store_b128 v219, v[91:94] offset:2880
	v_fma_f64 v[110:111], v[8:9], s[2:3], v[0:1]
	v_fma_f64 v[2:3], v[2:3], -0.5, v[99:100]
	v_add_f64_e32 v[99:100], v[4:5], v[138:139]
	v_add_f64_e64 v[4:5], v[132:133], -v[136:137]
	v_fma_f64 v[16:17], v[8:9], s[12:13], v[0:1]
	v_add_f64_e32 v[0:1], v[140:141], v[144:145]
	v_add_f64_e64 v[132:133], v[150:151], -v[155:156]
	s_delay_alu instid0(VALU_DEP_4) | instskip(SKIP_1) | instid1(VALU_DEP_4)
	v_fma_f64 v[112:113], v[4:5], s[12:13], v[2:3]
	v_fma_f64 v[18:19], v[4:5], s[2:3], v[2:3]
	v_fma_f64 v[0:1], v[0:1], -0.5, v[85:86]
	v_add_f64_e32 v[2:3], v[142:143], v[146:147]
	v_add_f64_e32 v[4:5], v[87:88], v[142:143]
	v_add_f64_e32 v[85:86], v[6:7], v[144:145]
	ds_store_b128 v218, v[97:100]
	ds_store_b128 v218, v[110:113] offset:1440
	ds_store_b128 v218, v[16:19] offset:2880
	v_mad_u16 v16, 0x10e, v168, v169
	v_fma_f64 v[8:9], v[10:11], s[2:3], v[0:1]
	v_fma_f64 v[2:3], v[2:3], -0.5, v[87:88]
	v_add_f64_e32 v[87:88], v[4:5], v[146:147]
	v_add_f64_e64 v[4:5], v[140:141], -v[144:145]
	v_fma_f64 v[12:13], v[10:11], s[12:13], v[0:1]
	v_add_f64_e32 v[0:1], v[148:149], v[153:154]
	v_and_b32_e32 v16, 0xffff, v16
	s_delay_alu instid0(VALU_DEP_1)
	v_lshlrev_b32_e32 v217, 4, v16
	v_fma_f64 v[10:11], v[4:5], s[12:13], v[2:3]
	v_fma_f64 v[14:15], v[4:5], s[2:3], v[2:3]
	v_fma_f64 v[2:3], v[0:1], -0.5, v[81:82]
	v_add_f64_e32 v[0:1], v[150:151], v[155:156]
	v_add_f64_e32 v[4:5], v[81:82], v[148:149]
	ds_store_b128 v217, v[85:88]
	ds_store_b128 v217, v[8:11] offset:1440
	ds_store_b128 v217, v[12:15] offset:2880
	v_and_b32_e32 v8, 0xffff, v170
	v_lshlrev_b32_e32 v87, 5, v172
	v_fma_f64 v[6:7], v[0:1], -0.5, v[83:84]
	v_add_f64_e32 v[0:1], v[83:84], v[150:151]
	v_add_f64_e32 v[81:82], v[4:5], v[153:154]
	v_fma_f64 v[4:5], v[132:133], s[12:13], v[2:3]
	v_lshlrev_b32_e32 v191, 4, v8
	s_delay_alu instid0(VALU_DEP_4)
	v_add_f64_e32 v[83:84], v[0:1], v[155:156]
	v_fma_f64 v[0:1], v[132:133], s[2:3], v[2:3]
	v_fma_f64 v[2:3], v[134:135], s[12:13], v[6:7]
	;; [unrolled: 1-line block ×3, first 2 shown]
	ds_store_b128 v191, v[81:84] offset:34560
	ds_store_b128 v191, v[0:3] offset:36000
	;; [unrolled: 1-line block ×3, first 2 shown]
	global_wb scope:SCOPE_SE
	s_wait_storecnt_dscnt 0x0
	s_barrier_signal -1
	s_barrier_wait -1
	global_inv scope:SCOPE_SE
	s_clause 0x1
	global_load_b128 v[11:14], v69, s[10:11] offset:4160
	global_load_b128 v[17:20], v69, s[10:11] offset:4176
	s_wait_loadcnt 0x1
	scratch_store_b128 off, v[11:14], off offset:668 ; 16-byte Folded Spill
	s_wait_loadcnt 0x0
	scratch_store_b128 off, v[17:20], off offset:620 ; 16-byte Folded Spill
	ds_load_b128 v[0:3], v152 offset:12960
	ds_load_b128 v[4:7], v152 offset:14256
	s_wait_dscnt 0x1
	v_mul_f64_e32 v[8:9], v[2:3], v[13:14]
	s_delay_alu instid0(VALU_DEP_1) | instskip(SKIP_1) | instid1(VALU_DEP_1)
	v_fma_f64 v[9:10], v[0:1], v[11:12], -v[8:9]
	v_mul_f64_e32 v[0:1], v[0:1], v[13:14]
	v_fma_f64 v[28:29], v[2:3], v[11:12], v[0:1]
	ds_load_b128 v[0:3], v152 offset:25920
	ds_load_b128 v[11:14], v152 offset:27216
	s_wait_dscnt 0x1
	v_mul_f64_e32 v[15:16], v[2:3], v[19:20]
	s_delay_alu instid0(VALU_DEP_1)
	v_fma_f64 v[30:31], v[0:1], v[17:18], -v[15:16]
	v_mul_f64_e32 v[0:1], v[0:1], v[19:20]
	global_load_b128 v[19:22], v87, s[10:11] offset:4160
	v_fma_f64 v[32:33], v[2:3], v[17:18], v[0:1]
	global_load_b128 v[15:18], v87, s[10:11] offset:4176
	s_wait_loadcnt 0x1
	v_mul_f64_e32 v[0:1], v[6:7], v[21:22]
	scratch_store_b128 off, v[19:22], off offset:636 ; 16-byte Folded Spill
	s_wait_loadcnt 0x0
	scratch_store_b128 off, v[15:18], off offset:652 ; 16-byte Folded Spill
	v_fma_f64 v[34:35], v[4:5], v[19:20], -v[0:1]
	v_mul_f64_e32 v[0:1], v[4:5], v[21:22]
	s_delay_alu instid0(VALU_DEP_1) | instskip(SKIP_2) | instid1(VALU_DEP_1)
	v_fma_f64 v[36:37], v[6:7], v[19:20], v[0:1]
	s_wait_dscnt 0x0
	v_mul_f64_e32 v[0:1], v[13:14], v[17:18]
	v_fma_f64 v[38:39], v[11:12], v[15:16], -v[0:1]
	v_mul_f64_e32 v[0:1], v[11:12], v[17:18]
	s_delay_alu instid0(VALU_DEP_1)
	v_fma_f64 v[40:41], v[13:14], v[15:16], v[0:1]
	s_clause 0x1
	global_load_b128 v[13:16], v23, s[10:11] offset:4160
	global_load_b128 v[17:20], v23, s[10:11] offset:4176
	ds_load_b128 v[0:3], v152 offset:15552
	ds_load_b128 v[4:7], v152 offset:16848
	s_wait_loadcnt_dscnt 0x101
	v_mul_f64_e32 v[11:12], v[2:3], v[15:16]
	scratch_store_b128 off, v[13:16], off offset:684 ; 16-byte Folded Spill
	v_fma_f64 v[48:49], v[0:1], v[13:14], -v[11:12]
	v_mul_f64_e32 v[0:1], v[0:1], v[15:16]
	s_delay_alu instid0(VALU_DEP_1)
	v_fma_f64 v[50:51], v[2:3], v[13:14], v[0:1]
	ds_load_b128 v[0:3], v152 offset:28512
	ds_load_b128 v[11:14], v152 offset:29808
	s_wait_loadcnt 0x0
	scratch_store_b128 off, v[17:20], off offset:700 ; 16-byte Folded Spill
	s_wait_dscnt 0x1
	v_mul_f64_e32 v[15:16], v[2:3], v[19:20]
	s_delay_alu instid0(VALU_DEP_1) | instskip(SKIP_1) | instid1(VALU_DEP_1)
	v_fma_f64 v[53:54], v[0:1], v[17:18], -v[15:16]
	v_mul_f64_e32 v[0:1], v[0:1], v[19:20]
	v_fma_f64 v[55:56], v[2:3], v[17:18], v[0:1]
	scratch_load_b32 v2, off, off offset:492 th:TH_LOAD_LU ; 4-byte Folded Reload
	v_add_co_u32 v0, s30, 0xffffffe5, v171
	s_wait_alu 0xf1ff
	v_add_co_ci_u32_e64 v1, null, 0, -1, s30
	s_wait_loadcnt 0x0
	s_wait_alu 0xfffd
	s_delay_alu instid0(VALU_DEP_1) | instskip(NEXT) | instid1(VALU_DEP_1)
	v_dual_cndmask_b32 v130, v0, v89 :: v_dual_cndmask_b32 v131, v1, v2
	v_lshlrev_b64_e32 v[0:1], 5, v[130:131]
	s_delay_alu instid0(VALU_DEP_1) | instskip(SKIP_1) | instid1(VALU_DEP_2)
	v_add_co_u32 v0, vcc_lo, s10, v0
	s_wait_alu 0xfffd
	v_add_co_ci_u32_e32 v1, vcc_lo, s11, v1, vcc_lo
	v_cmp_lt_u16_e64 vcc_lo, 26, v204
	s_clause 0x1
	global_load_b128 v[19:22], v[0:1], off offset:4160
	global_load_b128 v[15:18], v[0:1], off offset:4176
	s_wait_loadcnt 0x1
	v_mul_f64_e32 v[0:1], v[6:7], v[21:22]
	scratch_store_b128 off, v[19:22], off offset:732 ; 16-byte Folded Spill
	s_wait_loadcnt 0x0
	scratch_store_b128 off, v[15:18], off offset:716 ; 16-byte Folded Spill
	v_fma_f64 v[57:58], v[4:5], v[19:20], -v[0:1]
	v_mul_f64_e32 v[0:1], v[4:5], v[21:22]
	s_delay_alu instid0(VALU_DEP_1) | instskip(SKIP_2) | instid1(VALU_DEP_1)
	v_fma_f64 v[59:60], v[6:7], v[19:20], v[0:1]
	s_wait_dscnt 0x0
	v_mul_f64_e32 v[0:1], v[13:14], v[17:18]
	v_fma_f64 v[61:62], v[11:12], v[15:16], -v[0:1]
	v_mul_f64_e32 v[0:1], v[11:12], v[17:18]
	s_delay_alu instid0(VALU_DEP_1)
	v_fma_f64 v[63:64], v[13:14], v[15:16], v[0:1]
	s_clause 0x1
	global_load_b128 v[13:16], v69, s[10:11] offset:5888
	global_load_b128 v[17:20], v69, s[10:11] offset:5904
	ds_load_b128 v[1:4], v152 offset:18144
	ds_load_b128 v[5:8], v152 offset:19440
	s_wait_loadcnt_dscnt 0x101
	v_mul_f64_e32 v[11:12], v[3:4], v[15:16]
	scratch_store_b128 off, v[13:16], off offset:748 ; 16-byte Folded Spill
	v_fma_f64 v[75:76], v[1:2], v[13:14], -v[11:12]
	v_mul_f64_e32 v[0:1], v[1:2], v[15:16]
	s_delay_alu instid0(VALU_DEP_1)
	v_fma_f64 v[77:78], v[3:4], v[13:14], v[0:1]
	ds_load_b128 v[1:4], v152 offset:31104
	ds_load_b128 v[11:14], v152 offset:32400
	s_wait_loadcnt 0x0
	scratch_store_b128 off, v[17:20], off offset:764 ; 16-byte Folded Spill
	s_wait_dscnt 0x1
	v_mul_f64_e32 v[15:16], v[3:4], v[19:20]
	s_delay_alu instid0(VALU_DEP_1)
	v_fma_f64 v[81:82], v[1:2], v[17:18], -v[15:16]
	v_mul_f64_e32 v[0:1], v[1:2], v[19:20]
	global_load_b128 v[19:22], v69, s[10:11] offset:8480
	v_fma_f64 v[0:1], v[3:4], v[17:18], v[0:1]
	global_load_b128 v[15:18], v69, s[10:11] offset:8496
	s_wait_loadcnt 0x1
	v_mul_f64_e32 v[2:3], v[7:8], v[21:22]
	scratch_store_b128 off, v[19:22], off offset:796 ; 16-byte Folded Spill
	s_wait_loadcnt 0x0
	scratch_store_b128 off, v[15:18], off offset:780 ; 16-byte Folded Spill
	v_fma_f64 v[83:84], v[5:6], v[19:20], -v[2:3]
	v_mul_f64_e32 v[2:3], v[5:6], v[21:22]
	s_delay_alu instid0(VALU_DEP_1) | instskip(SKIP_2) | instid1(VALU_DEP_1)
	v_fma_f64 v[6:7], v[7:8], v[19:20], v[2:3]
	s_wait_dscnt 0x0
	v_mul_f64_e32 v[2:3], v[13:14], v[17:18]
	v_fma_f64 v[85:86], v[11:12], v[15:16], -v[2:3]
	v_mul_f64_e32 v[2:3], v[11:12], v[17:18]
	s_delay_alu instid0(VALU_DEP_1) | instskip(SKIP_1) | instid1(VALU_DEP_1)
	v_fma_f64 v[11:12], v[13:14], v[15:16], v[2:3]
	v_mul_u32_u24_e32 v2, 0x795d, v80
	v_lshrrev_b32_e32 v104, 23, v2
	s_delay_alu instid0(VALU_DEP_1) | instskip(NEXT) | instid1(VALU_DEP_1)
	v_mul_lo_u16 v2, 0x10e, v104
	v_sub_nc_u16 v88, v25, v2
	s_delay_alu instid0(VALU_DEP_1) | instskip(NEXT) | instid1(VALU_DEP_1)
	v_lshlrev_b16 v2, 5, v88
	v_and_b32_e32 v2, 0xffff, v2
	s_delay_alu instid0(VALU_DEP_1)
	v_add_co_u32 v2, s30, s10, v2
	s_wait_alu 0xf1ff
	v_add_co_ci_u32_e64 v3, null, s11, 0, s30
	s_clause 0x1
	global_load_b128 v[19:22], v[2:3], off offset:4160
	global_load_b128 v[42:45], v[2:3], off offset:4176
	ds_load_b128 v[2:5], v152 offset:20736
	ds_load_b128 v[13:16], v152 offset:22032
	s_wait_loadcnt_dscnt 0x101
	v_mul_f64_e32 v[17:18], v[4:5], v[21:22]
	scratch_store_b128 off, v[19:22], off offset:812 ; 16-byte Folded Spill
	v_fma_f64 v[106:107], v[2:3], v[19:20], -v[17:18]
	v_mul_f64_e32 v[2:3], v[2:3], v[21:22]
	s_delay_alu instid0(VALU_DEP_1) | instskip(SKIP_4) | instid1(VALU_DEP_1)
	v_fma_f64 v[108:109], v[4:5], v[19:20], v[2:3]
	ds_load_b128 v[2:5], v152 offset:33696
	ds_load_b128 v[17:20], v152 offset:34992
	s_wait_loadcnt_dscnt 0x1
	v_mul_f64_e32 v[21:22], v[4:5], v[44:45]
	v_fma_f64 v[110:111], v[2:3], v[42:43], -v[21:22]
	v_mul_f64_e32 v[2:3], v[2:3], v[44:45]
	s_delay_alu instid0(VALU_DEP_1) | instskip(SKIP_1) | instid1(VALU_DEP_1)
	v_fma_f64 v[112:113], v[4:5], v[42:43], v[2:3]
	v_mul_u32_u24_e32 v2, 0x795d, v96
	v_lshrrev_b32_e32 v2, 23, v2
	s_delay_alu instid0(VALU_DEP_1) | instskip(NEXT) | instid1(VALU_DEP_1)
	v_mul_lo_u16 v2, 0x10e, v2
	v_sub_nc_u16 v102, v27, v2
	s_delay_alu instid0(VALU_DEP_1) | instskip(NEXT) | instid1(VALU_DEP_1)
	v_lshlrev_b16 v2, 5, v102
	v_and_b32_e32 v2, 0xffff, v2
	s_delay_alu instid0(VALU_DEP_1)
	v_add_co_u32 v2, s30, s10, v2
	s_wait_alu 0xf1ff
	v_add_co_ci_u32_e64 v3, null, s11, 0, s30
	global_load_b128 v[65:68], v[2:3], off offset:4160
	scratch_store_b128 off, v[42:45], off offset:828 ; 16-byte Folded Spill
	global_load_b128 v[42:45], v[2:3], off offset:4176
	s_wait_loadcnt 0x1
	scratch_store_b128 off, v[65:68], off offset:860 ; 16-byte Folded Spill
	v_mul_f64_e32 v[2:3], v[15:16], v[67:68]
	s_wait_loadcnt 0x0
	scratch_store_b128 off, v[42:45], off offset:844 ; 16-byte Folded Spill
	v_fma_f64 v[114:115], v[13:14], v[65:66], -v[2:3]
	v_mul_f64_e32 v[2:3], v[13:14], v[67:68]
	s_delay_alu instid0(VALU_DEP_1) | instskip(SKIP_2) | instid1(VALU_DEP_1)
	v_fma_f64 v[116:117], v[15:16], v[65:66], v[2:3]
	s_wait_dscnt 0x0
	v_mul_f64_e32 v[2:3], v[19:20], v[44:45]
	v_fma_f64 v[118:119], v[17:18], v[42:43], -v[2:3]
	v_mul_f64_e32 v[2:3], v[17:18], v[44:45]
	s_delay_alu instid0(VALU_DEP_1) | instskip(SKIP_1) | instid1(VALU_DEP_1)
	v_fma_f64 v[120:121], v[19:20], v[42:43], v[2:3]
	v_mul_u32_u24_e32 v2, 0x795d, v95
	v_lshrrev_b32_e32 v2, 23, v2
	s_delay_alu instid0(VALU_DEP_1) | instskip(NEXT) | instid1(VALU_DEP_1)
	v_mul_lo_u16 v2, 0x10e, v2
	v_sub_nc_u16 v103, v26, v2
	s_delay_alu instid0(VALU_DEP_1) | instskip(NEXT) | instid1(VALU_DEP_1)
	v_lshlrev_b16 v2, 5, v103
	v_and_b32_e32 v2, 0xffff, v2
	s_delay_alu instid0(VALU_DEP_1)
	v_add_co_u32 v2, s30, s10, v2
	s_wait_alu 0xf1ff
	v_add_co_ci_u32_e64 v3, null, s11, 0, s30
	s_clause 0x1
	global_load_b128 v[19:22], v[2:3], off offset:4160
	global_load_b128 v[42:45], v[2:3], off offset:4176
	ds_load_b128 v[2:5], v152 offset:23328
	ds_load_b128 v[15:18], v152 offset:24624
	s_wait_loadcnt_dscnt 0x101
	v_mul_f64_e32 v[13:14], v[4:5], v[21:22]
	scratch_store_b128 off, v[19:22], off offset:892 ; 16-byte Folded Spill
	v_fma_f64 v[135:136], v[2:3], v[19:20], -v[13:14]
	v_mul_f64_e32 v[2:3], v[2:3], v[21:22]
	s_delay_alu instid0(VALU_DEP_1) | instskip(SKIP_4) | instid1(VALU_DEP_1)
	v_fma_f64 v[137:138], v[4:5], v[19:20], v[2:3]
	ds_load_b128 v[2:5], v152 offset:36288
	ds_load_b128 v[19:22], v152 offset:37584
	s_wait_loadcnt_dscnt 0x1
	v_mul_f64_e32 v[13:14], v[4:5], v[44:45]
	v_fma_f64 v[139:140], v[2:3], v[42:43], -v[13:14]
	v_mul_f64_e32 v[2:3], v[2:3], v[44:45]
	s_delay_alu instid0(VALU_DEP_1) | instskip(SKIP_1) | instid1(VALU_DEP_1)
	v_fma_f64 v[141:142], v[4:5], v[42:43], v[2:3]
	v_mul_u32_u24_e32 v2, 0x795d, v90
	v_lshrrev_b32_e32 v2, 23, v2
	s_delay_alu instid0(VALU_DEP_1) | instskip(NEXT) | instid1(VALU_DEP_1)
	v_mul_lo_u16 v2, 0x10e, v2
	v_sub_nc_u16 v14, v52, v2
	s_delay_alu instid0(VALU_DEP_1) | instskip(NEXT) | instid1(VALU_DEP_1)
	v_lshlrev_b16 v2, 5, v14
	v_and_b32_e32 v2, 0xffff, v2
	s_delay_alu instid0(VALU_DEP_1)
	v_add_co_u32 v2, s30, s10, v2
	s_wait_alu 0xf1ff
	v_add_co_ci_u32_e64 v3, null, s11, 0, s30
	global_load_b128 v[65:68], v[2:3], off offset:4160
	scratch_store_b128 off, v[42:45], off offset:956 ; 16-byte Folded Spill
	global_load_b128 v[42:45], v[2:3], off offset:4176
	s_wait_loadcnt 0x1
	scratch_store_b128 off, v[65:68], off offset:1004 ; 16-byte Folded Spill
	v_mul_f64_e32 v[2:3], v[17:18], v[67:68]
	s_wait_loadcnt 0x0
	scratch_store_b128 off, v[42:45], off offset:988 ; 16-byte Folded Spill
	v_fma_f64 v[143:144], v[15:16], v[65:66], -v[2:3]
	v_mul_f64_e32 v[2:3], v[15:16], v[67:68]
	s_delay_alu instid0(VALU_DEP_1) | instskip(SKIP_2) | instid1(VALU_DEP_1)
	v_fma_f64 v[145:146], v[17:18], v[65:66], v[2:3]
	s_wait_dscnt 0x0
	v_mul_f64_e32 v[2:3], v[21:22], v[44:45]
	v_fma_f64 v[147:148], v[19:20], v[42:43], -v[2:3]
	v_mul_f64_e32 v[2:3], v[19:20], v[44:45]
	v_add_f64_e32 v[19:20], v[9:10], v[30:31]
	s_delay_alu instid0(VALU_DEP_2)
	v_fma_f64 v[149:150], v[21:22], v[42:43], v[2:3]
	ds_load_b128 v[2:5], v152
	ds_load_b128 v[15:18], v152 offset:1296
	s_wait_dscnt 0x1
	v_fma_f64 v[42:43], v[19:20], -0.5, v[2:3]
	v_add_f64_e32 v[19:20], v[28:29], v[32:33]
	v_add_f64_e32 v[2:3], v[2:3], v[9:10]
	s_delay_alu instid0(VALU_DEP_2) | instskip(SKIP_1) | instid1(VALU_DEP_3)
	v_fma_f64 v[44:45], v[19:20], -0.5, v[4:5]
	v_add_f64_e32 v[4:5], v[4:5], v[28:29]
	v_add_f64_e32 v[19:20], v[2:3], v[30:31]
	v_add_f64_e64 v[2:3], v[9:10], -v[30:31]
	s_wait_dscnt 0x0
	v_add_f64_e32 v[8:9], v[17:18], v[36:37]
	v_add_f64_e64 v[28:29], v[28:29], -v[32:33]
	v_add_f64_e32 v[21:22], v[4:5], v[32:33]
	v_add_f64_e32 v[4:5], v[36:37], v[40:41]
	v_fma_f64 v[133:134], v[2:3], s[12:13], v[44:45]
	v_fma_f64 v[30:31], v[2:3], s[2:3], v[44:45]
	v_add_f64_e32 v[2:3], v[34:35], v[38:39]
	v_add_f64_e64 v[36:37], v[36:37], -v[40:41]
	v_fma_f64 v[131:132], v[28:29], s[2:3], v[42:43]
	v_fma_f64 v[28:29], v[28:29], s[12:13], v[42:43]
	v_fma_f64 v[4:5], v[4:5], -0.5, v[17:18]
	v_add_f64_e32 v[17:18], v[8:9], v[40:41]
	v_add_f64_e64 v[8:9], v[34:35], -v[38:39]
	v_fma_f64 v[2:3], v[2:3], -0.5, v[15:16]
	v_add_f64_e32 v[15:16], v[15:16], v[34:35]
	ds_load_b128 v[40:43], v152 offset:2592
	ds_load_b128 v[44:47], v152 offset:3888
	;; [unrolled: 1-line block ×8, first 2 shown]
	global_wb scope:SCOPE_SE
	s_wait_storecnt_dscnt 0x0
	s_barrier_signal -1
	s_barrier_wait -1
	global_inv scope:SCOPE_SE
	v_fma_f64 v[34:35], v[8:9], s[12:13], v[4:5]
	v_fma_f64 v[32:33], v[36:37], s[2:3], v[2:3]
	v_add_f64_e32 v[15:16], v[15:16], v[38:39]
	v_fma_f64 v[36:37], v[36:37], s[12:13], v[2:3]
	v_fma_f64 v[38:39], v[8:9], s[2:3], v[4:5]
	v_add_f64_e32 v[2:3], v[48:49], v[53:54]
	v_add_f64_e32 v[4:5], v[50:51], v[55:56]
	;; [unrolled: 1-line block ×3, first 2 shown]
	v_add_f64_e64 v[50:51], v[50:51], -v[55:56]
	s_delay_alu instid0(VALU_DEP_4) | instskip(NEXT) | instid1(VALU_DEP_4)
	v_fma_f64 v[2:3], v[2:3], -0.5, v[40:41]
	v_fma_f64 v[4:5], v[4:5], -0.5, v[42:43]
	v_add_f64_e32 v[40:41], v[40:41], v[48:49]
	v_add_f64_e32 v[42:43], v[8:9], v[55:56]
	v_add_f64_e64 v[8:9], v[48:49], -v[53:54]
	v_fma_f64 v[48:49], v[50:51], s[2:3], v[2:3]
	s_delay_alu instid0(VALU_DEP_4) | instskip(SKIP_1) | instid1(VALU_DEP_4)
	v_add_f64_e32 v[40:41], v[40:41], v[53:54]
	v_fma_f64 v[53:54], v[50:51], s[12:13], v[2:3]
	v_fma_f64 v[50:51], v[8:9], s[12:13], v[4:5]
	;; [unrolled: 1-line block ×3, first 2 shown]
	v_add_f64_e32 v[2:3], v[57:58], v[61:62]
	v_add_f64_e32 v[4:5], v[59:60], v[63:64]
	;; [unrolled: 1-line block ×3, first 2 shown]
	v_add_f64_e64 v[59:60], v[59:60], -v[63:64]
	ds_store_b128 v152, v[19:22]
	ds_store_b128 v152, v[15:18] offset:1296
	ds_store_b128 v152, v[40:43] offset:2592
	;; [unrolled: 1-line block ×8, first 2 shown]
	v_fma_f64 v[2:3], v[2:3], -0.5, v[44:45]
	v_fma_f64 v[4:5], v[4:5], -0.5, v[46:47]
	v_add_f64_e32 v[44:45], v[44:45], v[57:58]
	v_add_f64_e32 v[46:47], v[8:9], v[63:64]
	v_add_f64_e64 v[8:9], v[57:58], -v[61:62]
	v_fma_f64 v[57:58], v[59:60], s[2:3], v[2:3]
	s_delay_alu instid0(VALU_DEP_4) | instskip(SKIP_1) | instid1(VALU_DEP_4)
	v_add_f64_e32 v[44:45], v[44:45], v[61:62]
	v_fma_f64 v[61:62], v[59:60], s[12:13], v[2:3]
	v_fma_f64 v[59:60], v[8:9], s[12:13], v[4:5]
	;; [unrolled: 1-line block ×3, first 2 shown]
	v_add_f64_e32 v[2:3], v[75:76], v[81:82]
	v_add_f64_e32 v[4:5], v[77:78], v[0:1]
	;; [unrolled: 1-line block ×3, first 2 shown]
	v_add_f64_e64 v[77:78], v[77:78], -v[0:1]
	s_delay_alu instid0(VALU_DEP_4) | instskip(NEXT) | instid1(VALU_DEP_4)
	v_fma_f64 v[2:3], v[2:3], -0.5, v[65:66]
	v_fma_f64 v[4:5], v[4:5], -0.5, v[67:68]
	v_add_f64_e32 v[65:66], v[65:66], v[75:76]
	v_add_f64_e32 v[67:68], v[8:9], v[0:1]
	v_add_f64_e64 v[0:1], v[75:76], -v[81:82]
	v_add_f64_e32 v[8:9], v[71:72], v[83:84]
	v_fma_f64 v[75:76], v[77:78], s[2:3], v[2:3]
	v_fma_f64 v[79:80], v[77:78], s[12:13], v[2:3]
	v_add_f64_e32 v[65:66], v[65:66], v[81:82]
	v_add_f64_e32 v[2:3], v[6:7], v[11:12]
	v_fma_f64 v[77:78], v[0:1], s[12:13], v[4:5]
	v_fma_f64 v[81:82], v[0:1], s[2:3], v[4:5]
	v_add_f64_e32 v[0:1], v[83:84], v[85:86]
	v_add_f64_e32 v[4:5], v[73:74], v[6:7]
	v_add_f64_e64 v[6:7], v[6:7], -v[11:12]
	v_fma_f64 v[2:3], v[2:3], -0.5, v[73:74]
	s_delay_alu instid0(VALU_DEP_4) | instskip(NEXT) | instid1(VALU_DEP_4)
	v_fma_f64 v[0:1], v[0:1], -0.5, v[71:72]
	v_add_f64_e32 v[73:74], v[4:5], v[11:12]
	v_add_f64_e64 v[4:5], v[83:84], -v[85:86]
	v_add_f64_e32 v[71:72], v[8:9], v[85:86]
	v_add_f64_e64 v[8:9], v[108:109], -v[112:113]
	;; [unrolled: 2-line block ×3, first 2 shown]
	v_fma_f64 v[83:84], v[6:7], s[2:3], v[0:1]
	v_fma_f64 v[90:91], v[6:7], s[12:13], v[0:1]
	;; [unrolled: 1-line block ×4, first 2 shown]
	v_add_f64_e32 v[0:1], v[106:107], v[110:111]
	v_add_f64_e32 v[2:3], v[108:109], v[112:113]
	;; [unrolled: 1-line block ×4, first 2 shown]
	s_delay_alu instid0(VALU_DEP_4) | instskip(NEXT) | instid1(VALU_DEP_4)
	v_fma_f64 v[0:1], v[0:1], -0.5, v[94:95]
	v_fma_f64 v[2:3], v[2:3], -0.5, v[96:97]
	s_delay_alu instid0(VALU_DEP_4)
	v_add_f64_e32 v[96:97], v[4:5], v[112:113]
	v_add_f64_e64 v[4:5], v[106:107], -v[110:111]
	v_add_f64_e32 v[94:95], v[6:7], v[110:111]
	v_add_f64_e32 v[6:7], v[98:99], v[114:115]
	v_fma_f64 v[106:107], v[8:9], s[2:3], v[0:1]
	v_fma_f64 v[110:111], v[8:9], s[12:13], v[0:1]
	v_add_f64_e32 v[0:1], v[114:115], v[118:119]
	v_fma_f64 v[108:109], v[4:5], s[12:13], v[2:3]
	v_fma_f64 v[112:113], v[4:5], s[2:3], v[2:3]
	v_add_f64_e32 v[2:3], v[116:117], v[120:121]
	v_add_f64_e32 v[4:5], v[100:101], v[116:117]
	v_add_f64_e64 v[8:9], v[116:117], -v[120:121]
	v_fma_f64 v[0:1], v[0:1], -0.5, v[98:99]
	v_add_f64_e32 v[98:99], v[6:7], v[118:119]
	v_add_f64_e32 v[6:7], v[122:123], v[135:136]
	v_fma_f64 v[2:3], v[2:3], -0.5, v[100:101]
	v_add_f64_e32 v[100:101], v[4:5], v[120:121]
	v_add_f64_e64 v[4:5], v[114:115], -v[118:119]
	v_fma_f64 v[114:115], v[8:9], s[2:3], v[0:1]
	v_fma_f64 v[118:119], v[8:9], s[12:13], v[0:1]
	v_add_f64_e32 v[0:1], v[135:136], v[139:140]
	v_add_f64_e64 v[8:9], v[137:138], -v[141:142]
	v_fma_f64 v[116:117], v[4:5], s[12:13], v[2:3]
	v_fma_f64 v[120:121], v[4:5], s[2:3], v[2:3]
	v_add_f64_e32 v[2:3], v[137:138], v[141:142]
	v_add_f64_e32 v[4:5], v[124:125], v[137:138]
	v_fma_f64 v[0:1], v[0:1], -0.5, v[122:123]
	v_add_f64_e32 v[122:123], v[6:7], v[139:140]
	s_delay_alu instid0(VALU_DEP_4) | instskip(NEXT) | instid1(VALU_DEP_4)
	v_fma_f64 v[2:3], v[2:3], -0.5, v[124:125]
	v_add_f64_e32 v[124:125], v[4:5], v[141:142]
	v_add_f64_e64 v[4:5], v[135:136], -v[139:140]
	v_fma_f64 v[252:253], v[8:9], s[2:3], v[0:1]
	v_fma_f64 v[6:7], v[8:9], s[12:13], v[0:1]
	v_add_f64_e32 v[0:1], v[143:144], v[147:148]
	s_delay_alu instid0(VALU_DEP_4)
	v_fma_f64 v[254:255], v[4:5], s[12:13], v[2:3]
	v_fma_f64 v[8:9], v[4:5], s[2:3], v[2:3]
	v_add_f64_e32 v[2:3], v[145:146], v[149:150]
	v_add_f64_e32 v[4:5], v[128:129], v[145:146]
	v_fma_f64 v[0:1], v[0:1], -0.5, v[126:127]
	v_add_f64_e32 v[126:127], v[10:11], v[147:148]
	s_delay_alu instid0(VALU_DEP_4) | instskip(NEXT) | instid1(VALU_DEP_4)
	v_fma_f64 v[2:3], v[2:3], -0.5, v[128:129]
	v_add_f64_e32 v[128:129], v[4:5], v[149:150]
	v_add_f64_e64 v[4:5], v[143:144], -v[147:148]
	v_fma_f64 v[10:11], v[12:13], s[2:3], v[0:1]
	v_fma_f64 v[0:1], v[12:13], s[12:13], v[0:1]
	s_delay_alu instid0(VALU_DEP_3) | instskip(SKIP_3) | instid1(VALU_DEP_1)
	v_fma_f64 v[12:13], v[4:5], s[12:13], v[2:3]
	v_fma_f64 v[2:3], v[4:5], s[2:3], v[2:3]
	s_wait_alu 0xfffd
	v_cndmask_b32_e64 v4, 0, 0x32a, vcc_lo
	v_add_lshl_u32 v204, v130, v4, 4
	v_mad_u16 v4, 0x32a, v104, v88
	ds_store_b128 v204, v[44:47]
	ds_store_b128 v204, v[57:60] offset:4320
	ds_store_b128 v204, v[61:64] offset:8640
	;; [unrolled: 1-line block ×8, first 2 shown]
	v_and_b32_e32 v4, 0xffff, v4
	s_delay_alu instid0(VALU_DEP_1)
	v_lshlrev_b32_e32 v190, 4, v4
	v_and_b32_e32 v4, 0xffff, v102
	ds_store_b128 v190, v[94:97]
	ds_store_b128 v190, v[106:109] offset:4320
	ds_store_b128 v190, v[110:113] offset:8640
	v_lshlrev_b32_e32 v151, 4, v4
	v_and_b32_e32 v4, 0xffff, v103
	ds_store_b128 v151, v[114:117] offset:30240
	ds_store_b128 v151, v[98:101] offset:25920
	;; [unrolled: 1-line block ×3, first 2 shown]
	v_lshlrev_b32_e32 v150, 4, v4
	v_and_b32_e32 v4, 0xffff, v14
	ds_store_b128 v150, v[122:125] offset:25920
	ds_store_b128 v150, v[252:255] offset:30240
	;; [unrolled: 1-line block ×3, first 2 shown]
	v_lshlrev_b32_e32 v149, 4, v4
	ds_store_b128 v149, v[126:129] offset:25920
	ds_store_b128 v149, v[10:13] offset:30240
	;; [unrolled: 1-line block ×3, first 2 shown]
	global_wb scope:SCOPE_SE
	s_wait_dscnt 0x0
	s_barrier_signal -1
	s_barrier_wait -1
	global_inv scope:SCOPE_SE
	s_clause 0x1
	global_load_b128 v[14:17], v69, s[10:11] offset:12800
	global_load_b128 v[18:21], v69, s[10:11] offset:12816
	ds_load_b128 v[0:3], v152 offset:12960
	ds_load_b128 v[4:7], v152 offset:14256
	s_wait_loadcnt_dscnt 0x101
	v_mul_f64_e32 v[8:9], v[2:3], v[16:17]
	scratch_store_b128 off, v[14:17], off offset:876 ; 16-byte Folded Spill
	v_fma_f64 v[12:13], v[0:1], v[14:15], -v[8:9]
	v_mul_f64_e32 v[0:1], v[0:1], v[16:17]
	s_delay_alu instid0(VALU_DEP_1)
	v_fma_f64 v[14:15], v[2:3], v[14:15], v[0:1]
	ds_load_b128 v[0:3], v152 offset:25920
	ds_load_b128 v[8:11], v152 offset:27216
	s_clause 0x1
	global_load_b128 v[28:31], v87, s[10:11] offset:12800
	global_load_b128 v[34:37], v87, s[10:11] offset:12816
	s_wait_loadcnt 0x2
	scratch_store_b128 off, v[18:21], off offset:908 ; 16-byte Folded Spill
	s_wait_dscnt 0x1
	v_mul_f64_e32 v[16:17], v[2:3], v[20:21]
	s_delay_alu instid0(VALU_DEP_1) | instskip(SKIP_1) | instid1(VALU_DEP_1)
	v_fma_f64 v[16:17], v[0:1], v[18:19], -v[16:17]
	v_mul_f64_e32 v[0:1], v[0:1], v[20:21]
	v_fma_f64 v[18:19], v[2:3], v[18:19], v[0:1]
	s_wait_loadcnt 0x1
	v_mul_f64_e32 v[0:1], v[6:7], v[30:31]
	s_wait_loadcnt 0x0
	s_clause 0x1
	scratch_store_b128 off, v[34:37], off offset:924
	scratch_store_b128 off, v[28:31], off offset:940
	v_fma_f64 v[20:21], v[4:5], v[28:29], -v[0:1]
	v_mul_f64_e32 v[0:1], v[4:5], v[30:31]
	s_delay_alu instid0(VALU_DEP_1) | instskip(SKIP_2) | instid1(VALU_DEP_1)
	v_fma_f64 v[28:29], v[6:7], v[28:29], v[0:1]
	s_wait_dscnt 0x0
	v_mul_f64_e32 v[0:1], v[10:11], v[36:37]
	v_fma_f64 v[30:31], v[8:9], v[34:35], -v[0:1]
	v_mul_f64_e32 v[0:1], v[8:9], v[36:37]
	s_clause 0x1
	global_load_b128 v[36:39], v23, s[10:11] offset:12800
	global_load_b128 v[40:43], v23, s[10:11] offset:12816
	v_fma_f64 v[32:33], v[10:11], v[34:35], v[0:1]
	ds_load_b128 v[0:3], v152 offset:15552
	ds_load_b128 v[4:7], v152 offset:16848
	s_wait_loadcnt_dscnt 0x101
	v_mul_f64_e32 v[8:9], v[2:3], v[38:39]
	scratch_store_b128 off, v[36:39], off offset:972 ; 16-byte Folded Spill
	v_fma_f64 v[34:35], v[0:1], v[36:37], -v[8:9]
	v_mul_f64_e32 v[0:1], v[0:1], v[38:39]
	s_delay_alu instid0(VALU_DEP_1)
	v_fma_f64 v[36:37], v[2:3], v[36:37], v[0:1]
	ds_load_b128 v[0:3], v152 offset:28512
	ds_load_b128 v[8:11], v152 offset:29808
	s_wait_loadcnt 0x0
	scratch_store_b128 off, v[40:43], off offset:1020 ; 16-byte Folded Spill
	s_wait_dscnt 0x1
	v_mul_f64_e32 v[22:23], v[2:3], v[42:43]
	s_delay_alu instid0(VALU_DEP_1) | instskip(SKIP_1) | instid1(VALU_DEP_1)
	v_fma_f64 v[38:39], v[0:1], v[40:41], -v[22:23]
	v_mul_f64_e32 v[0:1], v[0:1], v[42:43]
	v_fma_f64 v[40:41], v[2:3], v[40:41], v[0:1]
	v_lshlrev_b32_e32 v0, 5, v89
	s_clause 0x1
	global_load_b128 v[44:47], v0, s[10:11] offset:12800
	global_load_b128 v[53:56], v0, s[10:11] offset:12816
	s_wait_loadcnt 0x1
	v_mul_f64_e32 v[0:1], v[6:7], v[46:47]
	scratch_store_b128 off, v[44:47], off offset:1052 ; 16-byte Folded Spill
	s_wait_loadcnt 0x0
	scratch_store_b128 off, v[53:56], off offset:1036 ; 16-byte Folded Spill
	v_fma_f64 v[42:43], v[4:5], v[44:45], -v[0:1]
	v_mul_f64_e32 v[0:1], v[4:5], v[46:47]
	s_delay_alu instid0(VALU_DEP_1) | instskip(SKIP_2) | instid1(VALU_DEP_1)
	v_fma_f64 v[44:45], v[6:7], v[44:45], v[0:1]
	s_wait_dscnt 0x0
	v_mul_f64_e32 v[0:1], v[10:11], v[55:56]
	v_fma_f64 v[46:47], v[8:9], v[53:54], -v[0:1]
	v_mul_f64_e32 v[0:1], v[8:9], v[55:56]
	s_delay_alu instid0(VALU_DEP_1)
	v_fma_f64 v[48:49], v[10:11], v[53:54], v[0:1]
	v_lshlrev_b32_e32 v0, 5, v70
	s_clause 0x1
	global_load_b128 v[53:56], v0, s[10:11] offset:12800
	global_load_b128 v[61:64], v0, s[10:11] offset:12816
	ds_load_b128 v[0:3], v152 offset:18144
	ds_load_b128 v[4:7], v152 offset:19440
	s_wait_loadcnt_dscnt 0x101
	v_mul_f64_e32 v[8:9], v[2:3], v[55:56]
	scratch_store_b128 off, v[53:56], off offset:1068 ; 16-byte Folded Spill
	v_fma_f64 v[57:58], v[0:1], v[53:54], -v[8:9]
	v_mul_f64_e32 v[0:1], v[0:1], v[55:56]
	s_delay_alu instid0(VALU_DEP_1)
	v_fma_f64 v[59:60], v[2:3], v[53:54], v[0:1]
	ds_load_b128 v[0:3], v152 offset:31104
	ds_load_b128 v[8:11], v152 offset:32400
	s_wait_loadcnt 0x0
	v_mov_b32_e32 v53, v61
	v_dual_mov_b32 v55, v63 :: v_dual_mov_b32 v56, v64
	v_mov_b32_e32 v54, v62
	s_wait_dscnt 0x1
	s_delay_alu instid0(VALU_DEP_2) | instskip(NEXT) | instid1(VALU_DEP_1)
	v_mul_f64_e32 v[22:23], v[2:3], v[55:56]
	v_fma_f64 v[61:62], v[0:1], v[53:54], -v[22:23]
	v_mul_f64_e32 v[0:1], v[0:1], v[55:56]
	s_delay_alu instid0(VALU_DEP_2) | instskip(NEXT) | instid1(VALU_DEP_2)
	v_add_f64_e32 v[73:74], v[57:58], v[61:62]
	v_fma_f64 v[63:64], v[2:3], v[53:54], v[0:1]
	v_lshlrev_b32_e32 v0, 5, v105
	global_load_b128 v[67:70], v0, s[10:11] offset:12800
	scratch_store_b128 off, v[53:56], off offset:1084 ; 16-byte Folded Spill
	global_load_b128 v[53:56], v0, s[10:11] offset:12816
	v_add_f64_e32 v[75:76], v[59:60], v[63:64]
	s_wait_loadcnt 0x1
	scratch_store_b128 off, v[67:70], off offset:1116 ; 16-byte Folded Spill
	v_mul_f64_e32 v[0:1], v[6:7], v[69:70]
	s_wait_loadcnt 0x0
	scratch_store_b128 off, v[53:56], off offset:1100 ; 16-byte Folded Spill
	v_fma_f64 v[65:66], v[4:5], v[67:68], -v[0:1]
	v_mul_f64_e32 v[0:1], v[4:5], v[69:70]
	s_delay_alu instid0(VALU_DEP_1) | instskip(SKIP_2) | instid1(VALU_DEP_1)
	v_fma_f64 v[67:68], v[6:7], v[67:68], v[0:1]
	s_wait_dscnt 0x0
	v_mul_f64_e32 v[0:1], v[10:11], v[55:56]
	v_fma_f64 v[69:70], v[8:9], v[53:54], -v[0:1]
	v_mul_f64_e32 v[0:1], v[8:9], v[55:56]
	s_delay_alu instid0(VALU_DEP_1)
	v_fma_f64 v[71:72], v[10:11], v[53:54], v[0:1]
	v_lshlrev_b32_e32 v0, 5, v25
	s_clause 0x1
	global_load_b128 v[22:25], v0, s[10:11] offset:12800
	global_load_b128 v[53:56], v0, s[10:11] offset:12816
	ds_load_b128 v[0:3], v152 offset:20736
	ds_load_b128 v[4:7], v152 offset:22032
	s_wait_loadcnt_dscnt 0x101
	v_mul_f64_e32 v[8:9], v[2:3], v[24:25]
	scratch_store_b128 off, v[22:25], off offset:492 ; 16-byte Folded Spill
	v_fma_f64 v[81:82], v[0:1], v[22:23], -v[8:9]
	v_mul_f64_e32 v[0:1], v[0:1], v[24:25]
	s_delay_alu instid0(VALU_DEP_1) | instskip(SKIP_4) | instid1(VALU_DEP_1)
	v_fma_f64 v[83:84], v[2:3], v[22:23], v[0:1]
	ds_load_b128 v[0:3], v152 offset:33696
	ds_load_b128 v[8:11], v152 offset:34992
	s_wait_loadcnt_dscnt 0x1
	v_mul_f64_e32 v[22:23], v[2:3], v[55:56]
	v_fma_f64 v[85:86], v[0:1], v[53:54], -v[22:23]
	v_mul_f64_e32 v[0:1], v[0:1], v[55:56]
	s_delay_alu instid0(VALU_DEP_2) | instskip(NEXT) | instid1(VALU_DEP_2)
	v_add_f64_e32 v[97:98], v[81:82], v[85:86]
	v_fma_f64 v[87:88], v[2:3], v[53:54], v[0:1]
	v_lshlrev_b32_e32 v0, 5, v27
	global_load_b128 v[22:25], v0, s[10:11] offset:12816
	scratch_store_b128 off, v[53:56], off offset:508 ; 16-byte Folded Spill
	global_load_b128 v[53:56], v0, s[10:11] offset:12800
	v_add_f64_e32 v[99:100], v[83:84], v[87:88]
	s_wait_loadcnt 0x1
	scratch_store_b128 off, v[22:25], off offset:524 ; 16-byte Folded Spill
	s_wait_loadcnt 0x0
	v_mul_f64_e32 v[0:1], v[6:7], v[55:56]
	scratch_store_b128 off, v[53:56], off offset:540 ; 16-byte Folded Spill
	v_fma_f64 v[89:90], v[4:5], v[53:54], -v[0:1]
	v_mul_f64_e32 v[0:1], v[4:5], v[55:56]
	s_delay_alu instid0(VALU_DEP_1) | instskip(SKIP_2) | instid1(VALU_DEP_1)
	v_fma_f64 v[91:92], v[6:7], v[53:54], v[0:1]
	s_wait_dscnt 0x0
	v_mul_f64_e32 v[0:1], v[10:11], v[24:25]
	v_fma_f64 v[93:94], v[8:9], v[22:23], -v[0:1]
	v_mul_f64_e32 v[0:1], v[8:9], v[24:25]
	s_delay_alu instid0(VALU_DEP_1)
	v_fma_f64 v[95:96], v[10:11], v[22:23], v[0:1]
	v_lshlrev_b32_e32 v0, 5, v26
	s_clause 0x1
	global_load_b128 v[22:25], v0, s[10:11] offset:12800
	global_load_b128 v[53:56], v0, s[10:11] offset:12816
	ds_load_b128 v[0:3], v152 offset:23328
	ds_load_b128 v[4:7], v152 offset:24624
	v_add_f64_e64 v[26:27], v[20:21], -v[30:31]
	s_wait_loadcnt_dscnt 0x101
	v_mul_f64_e32 v[8:9], v[2:3], v[24:25]
	scratch_store_b128 off, v[22:25], off offset:556 ; 16-byte Folded Spill
	v_fma_f64 v[105:106], v[0:1], v[22:23], -v[8:9]
	v_mul_f64_e32 v[0:1], v[0:1], v[24:25]
	s_delay_alu instid0(VALU_DEP_1) | instskip(SKIP_4) | instid1(VALU_DEP_1)
	v_fma_f64 v[107:108], v[2:3], v[22:23], v[0:1]
	ds_load_b128 v[0:3], v152 offset:36288
	ds_load_b128 v[8:11], v152 offset:37584
	s_wait_loadcnt_dscnt 0x1
	v_mul_f64_e32 v[22:23], v[2:3], v[55:56]
	v_fma_f64 v[109:110], v[0:1], v[53:54], -v[22:23]
	v_mul_f64_e32 v[0:1], v[0:1], v[55:56]
	s_delay_alu instid0(VALU_DEP_2) | instskip(NEXT) | instid1(VALU_DEP_2)
	v_add_f64_e32 v[121:122], v[105:106], v[109:110]
	v_fma_f64 v[111:112], v[2:3], v[53:54], v[0:1]
	v_lshlrev_b32_e32 v0, 5, v52
	global_load_b128 v[22:25], v0, s[10:11] offset:12816
	scratch_store_b128 off, v[53:56], off offset:572 ; 16-byte Folded Spill
	global_load_b128 v[50:53], v0, s[10:11] offset:12800
	s_add_nc_u64 s[10:11], s[8:9], 0x97e0
	v_add_f64_e32 v[123:124], v[107:108], v[111:112]
	s_wait_loadcnt 0x1
	scratch_store_b128 off, v[22:25], off offset:588 ; 16-byte Folded Spill
	s_wait_loadcnt 0x0
	v_mul_f64_e32 v[0:1], v[6:7], v[52:53]
	scratch_store_b128 off, v[50:53], off offset:604 ; 16-byte Folded Spill
	v_fma_f64 v[113:114], v[4:5], v[50:51], -v[0:1]
	v_mul_f64_e32 v[0:1], v[4:5], v[52:53]
	v_add_f64_e32 v[52:53], v[36:37], v[40:41]
	s_delay_alu instid0(VALU_DEP_2) | instskip(SKIP_3) | instid1(VALU_DEP_2)
	v_fma_f64 v[115:116], v[6:7], v[50:51], v[0:1]
	s_wait_dscnt 0x0
	v_mul_f64_e32 v[0:1], v[10:11], v[24:25]
	v_add_f64_e32 v[50:51], v[34:35], v[38:39]
	v_fma_f64 v[117:118], v[8:9], v[22:23], -v[0:1]
	v_mul_f64_e32 v[0:1], v[8:9], v[24:25]
	v_add_f64_e32 v[8:9], v[12:13], v[16:17]
	v_add_f64_e64 v[24:25], v[28:29], -v[32:33]
	s_delay_alu instid0(VALU_DEP_3)
	v_fma_f64 v[119:120], v[10:11], v[22:23], v[0:1]
	ds_load_b128 v[0:3], v152
	ds_load_b128 v[4:7], v152 offset:1296
	s_wait_dscnt 0x1
	v_fma_f64 v[10:11], v[8:9], -0.5, v[0:1]
	v_add_f64_e32 v[8:9], v[14:15], v[18:19]
	v_add_f64_e32 v[0:1], v[0:1], v[12:13]
	s_delay_alu instid0(VALU_DEP_2) | instskip(SKIP_2) | instid1(VALU_DEP_4)
	v_fma_f64 v[22:23], v[8:9], -0.5, v[2:3]
	v_add_f64_e32 v[2:3], v[2:3], v[14:15]
	v_add_f64_e64 v[14:15], v[14:15], -v[18:19]
	v_add_f64_e32 v[0:1], v[0:1], v[16:17]
	v_add_f64_e64 v[16:17], v[12:13], -v[16:17]
	s_delay_alu instid0(VALU_DEP_4) | instskip(NEXT) | instid1(VALU_DEP_4)
	v_add_f64_e32 v[2:3], v[2:3], v[18:19]
	v_fma_f64 v[8:9], v[14:15], s[2:3], v[10:11]
	v_fma_f64 v[12:13], v[14:15], s[12:13], v[10:11]
	s_delay_alu instid0(VALU_DEP_4) | instskip(SKIP_3) | instid1(VALU_DEP_1)
	v_fma_f64 v[10:11], v[16:17], s[12:13], v[22:23]
	v_fma_f64 v[14:15], v[16:17], s[2:3], v[22:23]
	v_add_f64_e32 v[16:17], v[20:21], v[30:31]
	s_wait_dscnt 0x0
	v_fma_f64 v[18:19], v[16:17], -0.5, v[4:5]
	v_add_f64_e32 v[16:17], v[28:29], v[32:33]
	v_add_f64_e32 v[4:5], v[4:5], v[20:21]
	s_delay_alu instid0(VALU_DEP_3) | instskip(NEXT) | instid1(VALU_DEP_3)
	v_fma_f64 v[20:21], v[24:25], s[12:13], v[18:19]
	v_fma_f64 v[22:23], v[16:17], -0.5, v[6:7]
	v_add_f64_e32 v[6:7], v[6:7], v[28:29]
	s_delay_alu instid0(VALU_DEP_4) | instskip(SKIP_1) | instid1(VALU_DEP_4)
	v_add_f64_e32 v[4:5], v[4:5], v[30:31]
	v_fma_f64 v[16:17], v[24:25], s[2:3], v[18:19]
	v_fma_f64 v[18:19], v[26:27], s[12:13], v[22:23]
	s_delay_alu instid0(VALU_DEP_4)
	v_add_f64_e32 v[6:7], v[6:7], v[32:33]
	v_fma_f64 v[22:23], v[26:27], s[2:3], v[22:23]
	ds_load_b128 v[25:28], v152 offset:2592
	ds_load_b128 v[29:32], v152 offset:3888
	s_wait_dscnt 0x1
	v_fma_f64 v[50:51], v[50:51], -0.5, v[25:26]
	v_fma_f64 v[52:53], v[52:53], -0.5, v[27:28]
	v_add_f64_e32 v[27:28], v[27:28], v[36:37]
	v_add_f64_e32 v[24:25], v[25:26], v[34:35]
	v_add_f64_e64 v[36:37], v[36:37], -v[40:41]
	s_delay_alu instid0(VALU_DEP_3) | instskip(NEXT) | instid1(VALU_DEP_3)
	v_add_f64_e32 v[27:28], v[27:28], v[40:41]
	v_add_f64_e32 v[25:26], v[24:25], v[38:39]
	v_add_f64_e64 v[39:40], v[34:35], -v[38:39]
	s_delay_alu instid0(VALU_DEP_4) | instskip(SKIP_2) | instid1(VALU_DEP_4)
	v_fma_f64 v[33:34], v[36:37], s[2:3], v[50:51]
	v_fma_f64 v[37:38], v[36:37], s[12:13], v[50:51]
	v_add_f64_e32 v[50:51], v[42:43], v[46:47]
	v_fma_f64 v[35:36], v[39:40], s[12:13], v[52:53]
	v_fma_f64 v[39:40], v[39:40], s[2:3], v[52:53]
	v_add_f64_e32 v[52:53], v[44:45], v[48:49]
	s_wait_dscnt 0x0
	s_delay_alu instid0(VALU_DEP_4) | instskip(SKIP_1) | instid1(VALU_DEP_3)
	v_fma_f64 v[50:51], v[50:51], -0.5, v[29:30]
	v_add_f64_e32 v[29:30], v[29:30], v[42:43]
	v_fma_f64 v[52:53], v[52:53], -0.5, v[31:32]
	v_add_f64_e32 v[31:32], v[31:32], v[44:45]
	v_add_f64_e64 v[44:45], v[44:45], -v[48:49]
	s_delay_alu instid0(VALU_DEP_4) | instskip(NEXT) | instid1(VALU_DEP_3)
	v_add_f64_e32 v[29:30], v[29:30], v[46:47]
	v_add_f64_e32 v[31:32], v[31:32], v[48:49]
	v_add_f64_e64 v[47:48], v[42:43], -v[46:47]
	s_delay_alu instid0(VALU_DEP_4) | instskip(SKIP_1) | instid1(VALU_DEP_3)
	v_fma_f64 v[41:42], v[44:45], s[2:3], v[50:51]
	v_fma_f64 v[45:46], v[44:45], s[12:13], v[50:51]
	v_fma_f64 v[43:44], v[47:48], s[12:13], v[52:53]
	v_fma_f64 v[47:48], v[47:48], s[2:3], v[52:53]
	ds_load_b128 v[49:52], v152 offset:5184
	ds_load_b128 v[53:56], v152 offset:6480
	s_wait_dscnt 0x1
	v_fma_f64 v[75:76], v[75:76], -0.5, v[51:52]
	v_add_f64_e32 v[51:52], v[51:52], v[59:60]
	v_fma_f64 v[73:74], v[73:74], -0.5, v[49:50]
	v_add_f64_e32 v[49:50], v[49:50], v[57:58]
	v_add_f64_e64 v[59:60], v[59:60], -v[63:64]
	s_delay_alu instid0(VALU_DEP_4) | instskip(SKIP_1) | instid1(VALU_DEP_4)
	v_add_f64_e32 v[51:52], v[51:52], v[63:64]
	v_add_f64_e64 v[63:64], v[57:58], -v[61:62]
	v_add_f64_e32 v[49:50], v[49:50], v[61:62]
	s_delay_alu instid0(VALU_DEP_4)
	v_fma_f64 v[57:58], v[59:60], s[2:3], v[73:74]
	v_fma_f64 v[61:62], v[59:60], s[12:13], v[73:74]
	v_add_f64_e32 v[73:74], v[65:66], v[69:70]
	v_fma_f64 v[59:60], v[63:64], s[12:13], v[75:76]
	v_fma_f64 v[63:64], v[63:64], s[2:3], v[75:76]
	v_add_f64_e32 v[75:76], v[67:68], v[71:72]
	s_wait_dscnt 0x0
	s_delay_alu instid0(VALU_DEP_4) | instskip(SKIP_1) | instid1(VALU_DEP_3)
	v_fma_f64 v[73:74], v[73:74], -0.5, v[53:54]
	v_add_f64_e32 v[53:54], v[53:54], v[65:66]
	v_fma_f64 v[75:76], v[75:76], -0.5, v[55:56]
	v_add_f64_e32 v[55:56], v[55:56], v[67:68]
	v_add_f64_e64 v[67:68], v[67:68], -v[71:72]
	s_delay_alu instid0(VALU_DEP_4) | instskip(NEXT) | instid1(VALU_DEP_3)
	v_add_f64_e32 v[53:54], v[53:54], v[69:70]
	v_add_f64_e32 v[55:56], v[55:56], v[71:72]
	v_add_f64_e64 v[71:72], v[65:66], -v[69:70]
	s_delay_alu instid0(VALU_DEP_4) | instskip(SKIP_1) | instid1(VALU_DEP_3)
	v_fma_f64 v[65:66], v[67:68], s[2:3], v[73:74]
	v_fma_f64 v[69:70], v[67:68], s[12:13], v[73:74]
	v_fma_f64 v[67:68], v[71:72], s[12:13], v[75:76]
	v_fma_f64 v[71:72], v[71:72], s[2:3], v[75:76]
	ds_load_b128 v[73:76], v152 offset:7776
	ds_load_b128 v[77:80], v152 offset:9072
	s_wait_dscnt 0x1
	v_fma_f64 v[99:100], v[99:100], -0.5, v[75:76]
	v_add_f64_e32 v[75:76], v[75:76], v[83:84]
	v_fma_f64 v[97:98], v[97:98], -0.5, v[73:74]
	v_add_f64_e32 v[73:74], v[73:74], v[81:82]
	v_add_f64_e64 v[83:84], v[83:84], -v[87:88]
	s_delay_alu instid0(VALU_DEP_4) | instskip(SKIP_1) | instid1(VALU_DEP_4)
	v_add_f64_e32 v[75:76], v[75:76], v[87:88]
	v_add_f64_e64 v[87:88], v[81:82], -v[85:86]
	v_add_f64_e32 v[73:74], v[73:74], v[85:86]
	s_delay_alu instid0(VALU_DEP_4)
	;; [unrolled: 35-line block ×3, first 2 shown]
	v_fma_f64 v[105:106], v[107:108], s[2:3], v[121:122]
	v_fma_f64 v[109:110], v[107:108], s[12:13], v[121:122]
	v_add_f64_e32 v[121:122], v[113:114], v[117:118]
	v_fma_f64 v[107:108], v[111:112], s[12:13], v[123:124]
	v_fma_f64 v[111:112], v[111:112], s[2:3], v[123:124]
	v_add_f64_e32 v[123:124], v[115:116], v[119:120]
	s_wait_dscnt 0x0
	s_delay_alu instid0(VALU_DEP_4) | instskip(SKIP_1) | instid1(VALU_DEP_3)
	v_fma_f64 v[121:122], v[121:122], -0.5, v[101:102]
	v_add_f64_e32 v[101:102], v[101:102], v[113:114]
	v_fma_f64 v[123:124], v[123:124], -0.5, v[103:104]
	v_add_f64_e32 v[103:104], v[103:104], v[115:116]
	v_add_f64_e64 v[115:116], v[115:116], -v[119:120]
	s_delay_alu instid0(VALU_DEP_4) | instskip(NEXT) | instid1(VALU_DEP_3)
	v_add_f64_e32 v[101:102], v[101:102], v[117:118]
	v_add_f64_e32 v[103:104], v[103:104], v[119:120]
	v_add_f64_e64 v[119:120], v[113:114], -v[117:118]
	s_delay_alu instid0(VALU_DEP_4) | instskip(SKIP_1) | instid1(VALU_DEP_3)
	v_fma_f64 v[113:114], v[115:116], s[2:3], v[121:122]
	v_fma_f64 v[117:118], v[115:116], s[12:13], v[121:122]
	;; [unrolled: 1-line block ×4, first 2 shown]
	ds_store_b128 v152, v[0:3]
	ds_store_b128 v152, v[4:7] offset:1296
	ds_store_b128 v152, v[25:28] offset:2592
	;; [unrolled: 1-line block ×29, first 2 shown]
	global_wb scope:SCOPE_SE
	s_wait_storecnt_dscnt 0x0
	s_barrier_signal -1
	s_barrier_wait -1
	global_inv scope:SCOPE_SE
	global_load_b128 v[0:3], v152, s[8:9] offset:38880
	ds_load_b128 v[4:7], v152
	ds_load_b128 v[8:11], v152 offset:1296
	s_clause 0x3
	global_load_b128 v[16:19], v152, s[10:11] offset:3888
	global_load_b128 v[25:28], v152, s[10:11] offset:5184
	global_load_b128 v[141:144], v152, s[10:11] offset:37584
	global_load_b128 v[33:36], v152, s[10:11] offset:7776
	ds_load_b128 v[20:23], v152 offset:3888
	ds_load_b128 v[137:140], v152 offset:2592
	ds_load_b128 v[37:40], v152 offset:7776
	ds_load_b128 v[41:44], v152 offset:9072
	s_clause 0x3
	global_load_b128 v[133:136], v152, s[10:11] offset:6480
	global_load_b128 v[49:52], v152, s[10:11] offset:11664
	global_load_b128 v[57:60], v152, s[10:11] offset:12960
	global_load_b128 v[65:68], v152, s[10:11] offset:15552
	ds_load_b128 v[53:56], v152 offset:11664
	ds_load_b128 v[61:64], v152 offset:10368
	ds_load_b128 v[69:72], v152 offset:15552
	;; [unrolled: 9-line block ×3, first 2 shown]
	ds_load_b128 v[105:108], v152 offset:24624
	s_clause 0x3
	global_load_b128 v[109:112], v152, s[10:11] offset:22032
	global_load_b128 v[113:116], v152, s[10:11] offset:27216
	;; [unrolled: 1-line block ×4, first 2 shown]
	ds_load_b128 v[117:120], v152 offset:27216
	ds_load_b128 v[125:128], v152 offset:25920
	s_wait_loadcnt_dscnt 0x100f
	v_mul_f64_e32 v[12:13], v[6:7], v[2:3]
	v_mul_f64_e32 v[2:3], v[4:5], v[2:3]
	s_delay_alu instid0(VALU_DEP_2) | instskip(NEXT) | instid1(VALU_DEP_2)
	v_fma_f64 v[169:170], v[4:5], v[0:1], -v[12:13]
	v_fma_f64 v[171:172], v[6:7], v[0:1], v[2:3]
	s_wait_loadcnt_dscnt 0xf0d
	v_mul_f64_e32 v[0:1], v[22:23], v[18:19]
	v_mul_f64_e32 v[2:3], v[20:21], v[18:19]
	ds_load_b128 v[252:255], v152 offset:31104
	ds_load_b128 v[12:15], v152 offset:32400
	;; [unrolled: 1-line block ×3, first 2 shown]
	v_fma_f64 v[165:166], v[20:21], v[16:17], -v[0:1]
	v_fma_f64 v[167:168], v[22:23], v[16:17], v[2:3]
	s_wait_loadcnt_dscnt 0xc0e
	v_mul_f64_e32 v[0:1], v[39:40], v[35:36]
	v_mul_f64_e32 v[2:3], v[37:38], v[35:36]
	s_delay_alu instid0(VALU_DEP_2) | instskip(NEXT) | instid1(VALU_DEP_2)
	v_fma_f64 v[161:162], v[37:38], v[33:34], -v[0:1]
	v_fma_f64 v[163:164], v[39:40], v[33:34], v[2:3]
	s_wait_loadcnt_dscnt 0xa0c
	v_mul_f64_e32 v[0:1], v[55:56], v[51:52]
	v_mul_f64_e32 v[2:3], v[53:54], v[51:52]
	global_load_b128 v[37:40], v152, s[10:11] offset:36288
	v_fma_f64 v[157:158], v[53:54], v[49:50], -v[0:1]
	v_fma_f64 v[159:160], v[55:56], v[49:50], v[2:3]
	s_wait_loadcnt_dscnt 0x90a
	v_mul_f64_e32 v[0:1], v[71:72], v[67:68]
	v_mul_f64_e32 v[2:3], v[69:70], v[67:68]
	global_load_b128 v[49:52], v152, s[10:11] offset:29808
	v_fma_f64 v[153:154], v[69:70], v[65:66], -v[0:1]
	v_fma_f64 v[155:156], v[71:72], v[65:66], v[2:3]
	s_wait_loadcnt_dscnt 0x808
	v_mul_f64_e32 v[0:1], v[87:88], v[83:84]
	v_mul_f64_e32 v[2:3], v[85:86], v[83:84]
	s_delay_alu instid0(VALU_DEP_2) | instskip(NEXT) | instid1(VALU_DEP_2)
	v_fma_f64 v[185:186], v[85:86], v[81:82], -v[0:1]
	v_fma_f64 v[187:188], v[87:88], v[81:82], v[2:3]
	s_wait_loadcnt_dscnt 0x606
	v_mul_f64_e32 v[0:1], v[103:104], v[99:100]
	v_mul_f64_e32 v[2:3], v[101:102], v[99:100]
	s_delay_alu instid0(VALU_DEP_2) | instskip(NEXT) | instid1(VALU_DEP_2)
	;; [unrolled: 6-line block ×4, first 2 shown]
	v_fma_f64 v[252:253], v[252:253], v[129:130], -v[0:1]
	v_fma_f64 v[254:255], v[254:255], v[129:130], v[2:3]
	global_load_b128 v[129:132], v152, s[10:11] offset:34992
	ds_load_b128 v[0:3], v152 offset:34992
	s_wait_loadcnt_dscnt 0x0
	v_mul_f64_e32 v[4:5], v[2:3], v[131:132]
	v_mul_f64_e32 v[6:7], v[0:1], v[131:132]
	s_delay_alu instid0(VALU_DEP_2) | instskip(NEXT) | instid1(VALU_DEP_2)
	v_fma_f64 v[97:98], v[0:1], v[129:130], -v[4:5]
	v_fma_f64 v[99:100], v[2:3], v[129:130], v[6:7]
	s_clause 0x1
	global_load_b128 v[129:132], v152, s[10:11] offset:1296
	global_load_b128 v[33:36], v152, s[10:11] offset:2592
	s_wait_loadcnt 0x1
	v_mul_f64_e32 v[0:1], v[10:11], v[131:132]
	v_mul_f64_e32 v[2:3], v[8:9], v[131:132]
	s_delay_alu instid0(VALU_DEP_2) | instskip(NEXT) | instid1(VALU_DEP_2)
	v_fma_f64 v[81:82], v[8:9], v[129:130], -v[0:1]
	v_fma_f64 v[83:84], v[10:11], v[129:130], v[2:3]
	ds_load_b128 v[129:132], v152 offset:5184
	ds_load_b128 v[29:32], v152 offset:6480
	s_wait_dscnt 0x1
	v_mul_f64_e32 v[0:1], v[131:132], v[27:28]
	v_mul_f64_e32 v[2:3], v[129:130], v[27:28]
	s_delay_alu instid0(VALU_DEP_2) | instskip(NEXT) | instid1(VALU_DEP_2)
	v_fma_f64 v[129:130], v[129:130], v[25:26], -v[0:1]
	v_fma_f64 v[131:132], v[131:132], v[25:26], v[2:3]
	s_clause 0x1
	global_load_b128 v[25:28], v152, s[10:11] offset:9072
	global_load_b128 v[20:23], v152, s[10:11] offset:10368
	s_wait_loadcnt 0x1
	v_mul_f64_e32 v[0:1], v[43:44], v[27:28]
	v_mul_f64_e32 v[2:3], v[41:42], v[27:28]
	s_delay_alu instid0(VALU_DEP_2) | instskip(NEXT) | instid1(VALU_DEP_2)
	v_fma_f64 v[65:66], v[41:42], v[25:26], -v[0:1]
	v_fma_f64 v[67:68], v[43:44], v[25:26], v[2:3]
	ds_load_b128 v[25:28], v152 offset:12960
	ds_load_b128 v[16:19], v152 offset:14256
	s_wait_dscnt 0x1
	v_mul_f64_e32 v[0:1], v[27:28], v[59:60]
	v_mul_f64_e32 v[2:3], v[25:26], v[59:60]
	s_delay_alu instid0(VALU_DEP_2) | instskip(NEXT) | instid1(VALU_DEP_2)
	v_fma_f64 v[41:42], v[25:26], v[57:58], -v[0:1]
	v_fma_f64 v[43:44], v[27:28], v[57:58], v[2:3]
	s_clause 0x1
	global_load_b128 v[55:58], v152, s[10:11] offset:16848
	global_load_b128 v[8:11], v152, s[10:11] offset:18144
	s_wait_loadcnt 0x1
	v_mul_f64_e32 v[0:1], v[75:76], v[57:58]
	v_mul_f64_e32 v[2:3], v[73:74], v[57:58]
	s_delay_alu instid0(VALU_DEP_2)
	v_fma_f64 v[53:54], v[73:74], v[55:56], -v[0:1]
	ds_load_b128 v[57:60], v152 offset:20736
	ds_load_b128 v[71:74], v152 offset:22032
	v_fma_f64 v[55:56], v[75:76], v[55:56], v[2:3]
	s_wait_dscnt 0x1
	v_mul_f64_e32 v[0:1], v[59:60], v[91:92]
	v_mul_f64_e32 v[2:3], v[57:58], v[91:92]
	s_delay_alu instid0(VALU_DEP_2) | instskip(NEXT) | instid1(VALU_DEP_2)
	v_fma_f64 v[57:58], v[57:58], v[89:90], -v[0:1]
	v_fma_f64 v[59:60], v[59:60], v[89:90], v[2:3]
	s_clause 0x1
	global_load_b128 v[87:90], v152, s[10:11] offset:24624
	global_load_b128 v[4:7], v152, s[10:11] offset:25920
	s_wait_loadcnt 0x1
	v_mul_f64_e32 v[0:1], v[107:108], v[89:90]
	v_mul_f64_e32 v[2:3], v[105:106], v[89:90]
	s_delay_alu instid0(VALU_DEP_2) | instskip(NEXT) | instid1(VALU_DEP_2)
	v_fma_f64 v[89:90], v[105:106], v[87:88], -v[0:1]
	v_fma_f64 v[91:92], v[107:108], v[87:88], v[2:3]
	ds_load_b128 v[103:106], v152 offset:28512
	ds_load_b128 v[0:3], v152 offset:29808
	s_wait_dscnt 0x1
	v_mul_f64_e32 v[24:25], v[105:106], v[123:124]
	v_mul_f64_e32 v[26:27], v[103:104], v[123:124]
	s_delay_alu instid0(VALU_DEP_2) | instskip(NEXT) | instid1(VALU_DEP_2)
	v_fma_f64 v[85:86], v[103:104], v[121:122], -v[24:25]
	v_fma_f64 v[87:88], v[105:106], v[121:122], v[26:27]
	s_clause 0x1
	global_load_b128 v[103:106], v152, s[10:11] offset:32400
	global_load_b128 v[119:122], v152, s[10:11] offset:33696
	s_wait_loadcnt 0x1
	v_mul_f64_e32 v[24:25], v[14:15], v[105:106]
	v_mul_f64_e32 v[26:27], v[12:13], v[105:106]
	s_delay_alu instid0(VALU_DEP_2) | instskip(NEXT) | instid1(VALU_DEP_2)
	v_fma_f64 v[24:25], v[12:13], v[103:104], -v[24:25]
	v_fma_f64 v[26:27], v[14:15], v[103:104], v[26:27]
	ds_load_b128 v[103:106], v152 offset:36288
	ds_load_b128 v[12:15], v152 offset:37584
	s_wait_dscnt 0x1
	v_mul_f64_e32 v[69:70], v[105:106], v[39:40]
	v_mul_f64_e32 v[39:40], v[103:104], v[39:40]
	s_delay_alu instid0(VALU_DEP_2) | instskip(NEXT) | instid1(VALU_DEP_2)
	v_fma_f64 v[101:102], v[103:104], v[37:38], -v[69:70]
	v_fma_f64 v[103:104], v[105:106], v[37:38], v[39:40]
	v_mul_f64_e32 v[37:38], v[139:140], v[35:36]
	v_mul_f64_e32 v[39:40], v[137:138], v[35:36]
	s_delay_alu instid0(VALU_DEP_2) | instskip(NEXT) | instid1(VALU_DEP_2)
	v_fma_f64 v[35:36], v[137:138], v[33:34], -v[37:38]
	v_fma_f64 v[37:38], v[139:140], v[33:34], v[39:40]
	v_mul_f64_e32 v[33:34], v[31:32], v[135:136]
	v_mul_f64_e32 v[39:40], v[29:30], v[135:136]
	s_delay_alu instid0(VALU_DEP_2) | instskip(NEXT) | instid1(VALU_DEP_2)
	v_fma_f64 v[28:29], v[29:30], v[133:134], -v[33:34]
	v_fma_f64 v[30:31], v[31:32], v[133:134], v[39:40]
	v_mul_f64_e32 v[32:33], v[63:64], v[22:23]
	v_mul_f64_e32 v[22:23], v[61:62], v[22:23]
	s_wait_dscnt 0x0
	v_mul_f64_e32 v[39:40], v[12:13], v[143:144]
	s_delay_alu instid0(VALU_DEP_3) | instskip(NEXT) | instid1(VALU_DEP_3)
	v_fma_f64 v[61:62], v[61:62], v[20:21], -v[32:33]
	v_fma_f64 v[63:64], v[63:64], v[20:21], v[22:23]
	v_mul_f64_e32 v[20:21], v[18:19], v[79:80]
	v_mul_f64_e32 v[22:23], v[16:17], v[79:80]
	;; [unrolled: 1-line block ×4, first 2 shown]
	s_delay_alu instid0(VALU_DEP_4)
	v_fma_f64 v[16:17], v[16:17], v[77:78], -v[20:21]
	v_mul_f64_e32 v[20:21], v[95:96], v[10:11]
	v_mul_f64_e32 v[10:11], v[93:94], v[10:11]
	v_fma_f64 v[18:19], v[18:19], v[77:78], v[22:23]
	v_fma_f64 v[69:70], v[125:126], v[4:5], -v[32:33]
	v_mul_f64_e32 v[32:33], v[14:15], v[143:144]
	v_fma_f64 v[14:15], v[14:15], v[141:142], v[39:40]
	v_fma_f64 v[20:21], v[93:94], v[8:9], -v[20:21]
	v_fma_f64 v[22:23], v[95:96], v[8:9], v[10:11]
	v_mul_f64_e32 v[8:9], v[73:74], v[111:112]
	v_mul_f64_e32 v[10:11], v[71:72], v[111:112]
	v_fma_f64 v[12:13], v[12:13], v[141:142], -v[32:33]
	s_delay_alu instid0(VALU_DEP_3) | instskip(SKIP_4) | instid1(VALU_DEP_3)
	v_fma_f64 v[8:9], v[71:72], v[109:110], -v[8:9]
	v_fma_f64 v[71:72], v[127:128], v[4:5], v[6:7]
	v_mul_f64_e32 v[4:5], v[2:3], v[51:52]
	v_mul_f64_e32 v[6:7], v[0:1], v[51:52]
	v_fma_f64 v[10:11], v[73:74], v[109:110], v[10:11]
	v_fma_f64 v[0:1], v[0:1], v[49:50], -v[4:5]
	s_delay_alu instid0(VALU_DEP_3) | instskip(SKIP_3) | instid1(VALU_DEP_2)
	v_fma_f64 v[2:3], v[2:3], v[49:50], v[6:7]
	s_wait_loadcnt 0x0
	v_mul_f64_e32 v[4:5], v[47:48], v[121:122]
	v_mul_f64_e32 v[6:7], v[45:46], v[121:122]
	v_fma_f64 v[4:5], v[45:46], v[119:120], -v[4:5]
	s_delay_alu instid0(VALU_DEP_2)
	v_fma_f64 v[6:7], v[47:48], v[119:120], v[6:7]
	ds_store_b128 v152, v[169:172]
	ds_store_b128 v152, v[165:168] offset:3888
	ds_store_b128 v152, v[161:164] offset:7776
	;; [unrolled: 1-line block ×29, first 2 shown]
	global_wb scope:SCOPE_SE
	s_wait_dscnt 0x0
	s_barrier_signal -1
	s_barrier_wait -1
	global_inv scope:SCOPE_SE
	ds_load_b128 v[20:23], v152 offset:7776
	ds_load_b128 v[16:19], v152
	ds_load_b128 v[52:55], v152 offset:1296
	ds_load_b128 v[12:15], v152 offset:9072
	;; [unrolled: 1-line block ×4, first 2 shown]
	s_wait_dscnt 0x4
	v_add_f64_e32 v[8:9], v[16:17], v[20:21]
	s_wait_dscnt 0x1
	v_add_f64_e64 v[68:69], v[20:21], -v[0:1]
	v_add_f64_e64 v[76:77], v[0:1], -v[20:21]
	;; [unrolled: 1-line block ×4, first 2 shown]
	v_add_f64_e32 v[32:33], v[8:9], v[0:1]
	v_add_f64_e32 v[8:9], v[18:19], v[22:23]
	s_delay_alu instid0(VALU_DEP_1)
	v_add_f64_e32 v[34:35], v[8:9], v[2:3]
	ds_load_b128 v[24:27], v152 offset:23328
	ds_load_b128 v[8:11], v152 offset:24624
	s_wait_dscnt 0x1
	v_add_f64_e32 v[56:57], v[0:1], v[24:25]
	v_add_f64_e64 v[58:59], v[2:3], -v[26:27]
	v_add_f64_e32 v[64:65], v[2:3], v[26:27]
	v_add_f64_e64 v[92:93], v[0:1], -v[24:25]
	ds_load_b128 v[28:31], v152 offset:31104
	ds_load_b128 v[0:3], v152 offset:32400
	s_wait_dscnt 0x1
	v_add_f64_e64 v[94:95], v[22:23], -v[30:31]
	v_add_f64_e32 v[66:67], v[20:21], v[28:29]
	v_add_f64_e64 v[96:97], v[20:21], -v[28:29]
	v_add_f64_e32 v[72:73], v[22:23], v[30:31]
	v_add_f64_e32 v[20:21], v[32:33], v[24:25]
	;; [unrolled: 1-line block ×3, first 2 shown]
	v_add_f64_e64 v[74:75], v[28:29], -v[24:25]
	v_add_f64_e64 v[80:81], v[24:25], -v[28:29]
	;; [unrolled: 1-line block ×4, first 2 shown]
	v_fma_f64 v[56:57], v[56:57], -0.5, v[16:17]
	v_fma_f64 v[16:17], v[66:67], -0.5, v[16:17]
	v_add_f64_e32 v[86:87], v[20:21], v[28:29]
	v_add_f64_e32 v[88:89], v[22:23], v[30:31]
	ds_load_b128 v[20:23], v152 offset:11664
	ds_load_b128 v[24:27], v152 offset:3888
	;; [unrolled: 1-line block ×6, first 2 shown]
	v_add_f64_e32 v[84:85], v[78:79], v[84:85]
	s_wait_dscnt 0x4
	v_add_f64_e32 v[32:33], v[24:25], v[20:21]
	s_wait_dscnt 0x1
	v_add_f64_e64 v[104:105], v[20:21], -v[28:29]
	v_add_f64_e64 v[106:107], v[28:29], -v[20:21]
	;; [unrolled: 1-line block ×4, first 2 shown]
	v_add_f64_e32 v[90:91], v[32:33], v[28:29]
	v_add_f64_e32 v[32:33], v[26:27], v[22:23]
	s_delay_alu instid0(VALU_DEP_1)
	v_add_f64_e32 v[98:99], v[32:33], v[30:31]
	ds_load_b128 v[32:35], v152 offset:27216
	ds_load_b128 v[44:47], v152 offset:25920
	s_wait_dscnt 0x1
	v_add_f64_e32 v[108:109], v[30:31], v[34:35]
	v_add_f64_e32 v[90:91], v[90:91], v[32:33]
	;; [unrolled: 1-line block ×3, first 2 shown]
	v_add_f64_e64 v[102:103], v[30:31], -v[34:35]
	v_add_f64_e64 v[110:111], v[28:29], -v[32:33]
	ds_load_b128 v[28:31], v152 offset:34992
	ds_load_b128 v[36:39], v152 offset:33696
	v_add_f64_e32 v[98:99], v[98:99], v[34:35]
	s_wait_dscnt 0x1
	v_add_f64_e32 v[118:119], v[20:21], v[28:29]
	v_add_f64_e64 v[20:21], v[20:21], -v[28:29]
	v_add_f64_e64 v[120:121], v[28:29], -v[32:33]
	v_add_f64_e64 v[32:33], v[32:33], -v[28:29]
	v_add_f64_e64 v[116:117], v[22:23], -v[30:31]
	v_add_f64_e32 v[22:23], v[22:23], v[30:31]
	v_add_f64_e64 v[122:123], v[30:31], -v[34:35]
	v_add_f64_e64 v[34:35], v[34:35], -v[30:31]
	v_fma_f64 v[108:109], v[108:109], -0.5, v[26:27]
	v_add_f64_e32 v[28:29], v[90:91], v[28:29]
	v_fma_f64 v[100:101], v[100:101], -0.5, v[24:25]
	v_add_f64_e32 v[30:31], v[98:99], v[30:31]
	v_fma_f64 v[98:99], v[64:65], -0.5, v[18:19]
	v_fma_f64 v[18:19], v[72:73], -0.5, v[18:19]
	;; [unrolled: 1-line block ×3, first 2 shown]
	v_add_f64_e32 v[104:105], v[104:105], v[120:121]
	v_add_f64_e32 v[32:33], v[106:107], v[32:33]
	v_fma_f64 v[22:23], v[22:23], -0.5, v[26:27]
	v_add_f64_e32 v[112:113], v[112:113], v[122:123]
	v_add_f64_e32 v[34:35], v[114:115], v[34:35]
	;; [unrolled: 1-line block ×3, first 2 shown]
	v_add_f64_e64 v[64:65], v[86:87], -v[28:29]
	v_add_f64_e32 v[28:29], v[68:69], v[74:75]
	v_fma_f64 v[68:69], v[20:21], s[20:21], v[108:109]
	v_add_f64_e32 v[26:27], v[88:89], v[30:31]
	v_add_f64_e64 v[66:67], v[88:89], -v[30:31]
	v_add_f64_e32 v[30:31], v[70:71], v[82:83]
	v_fma_f64 v[70:71], v[116:117], s[22:23], v[100:101]
	v_fma_f64 v[78:79], v[102:103], s[20:21], v[90:91]
	;; [unrolled: 1-line block ×3, first 2 shown]
	s_delay_alu instid0(VALU_DEP_3) | instskip(NEXT) | instid1(VALU_DEP_3)
	v_fma_f64 v[70:71], v[102:103], s[16:17], v[70:71]
	v_fma_f64 v[78:79], v[116:117], s[16:17], v[78:79]
	s_delay_alu instid0(VALU_DEP_3) | instskip(NEXT) | instid1(VALU_DEP_3)
	v_fma_f64 v[68:69], v[112:113], s[18:19], v[68:69]
	v_fma_f64 v[70:71], v[104:105], s[18:19], v[70:71]
	s_delay_alu instid0(VALU_DEP_3) | instskip(NEXT) | instid1(VALU_DEP_3)
	v_fma_f64 v[78:79], v[32:33], s[18:19], v[78:79]
	v_mul_f64_e32 v[72:73], s[16:17], v[68:69]
	s_delay_alu instid0(VALU_DEP_1) | instskip(SKIP_1) | instid1(VALU_DEP_1)
	v_fma_f64 v[72:73], v[70:71], s[24:25], v[72:73]
	v_mul_f64_e32 v[70:71], s[14:15], v[70:71]
	v_fma_f64 v[74:75], v[68:69], s[24:25], v[70:71]
	v_fma_f64 v[70:71], v[96:97], s[20:21], v[98:99]
	v_fma_f64 v[68:69], v[94:95], s[22:23], v[56:57]
	s_delay_alu instid0(VALU_DEP_2) | instskip(NEXT) | instid1(VALU_DEP_2)
	v_fma_f64 v[70:71], v[92:93], s[14:15], v[70:71]
	v_fma_f64 v[68:69], v[58:59], s[16:17], v[68:69]
	s_delay_alu instid0(VALU_DEP_2) | instskip(NEXT) | instid1(VALU_DEP_2)
	v_fma_f64 v[86:87], v[30:31], s[18:19], v[70:71]
	v_fma_f64 v[82:83], v[28:29], s[18:19], v[68:69]
	s_delay_alu instid0(VALU_DEP_2)
	v_add_f64_e32 v[70:71], v[86:87], v[74:75]
	v_add_f64_e64 v[74:75], v[86:87], -v[74:75]
	v_add_f64_e32 v[86:87], v[76:77], v[80:81]
	v_fma_f64 v[76:77], v[110:111], s[22:23], v[22:23]
	v_fma_f64 v[22:23], v[110:111], s[20:21], v[22:23]
	v_add_f64_e32 v[68:69], v[82:83], v[72:73]
	v_add_f64_e64 v[72:73], v[82:83], -v[72:73]
	s_delay_alu instid0(VALU_DEP_4) | instskip(NEXT) | instid1(VALU_DEP_4)
	v_fma_f64 v[76:77], v[20:21], s[14:15], v[76:77]
	v_fma_f64 v[22:23], v[20:21], s[16:17], v[22:23]
	s_delay_alu instid0(VALU_DEP_2) | instskip(NEXT) | instid1(VALU_DEP_2)
	v_fma_f64 v[76:77], v[34:35], s[18:19], v[76:77]
	v_fma_f64 v[22:23], v[34:35], s[18:19], v[22:23]
	;; [unrolled: 1-line block ×3, first 2 shown]
	s_delay_alu instid0(VALU_DEP_3) | instskip(SKIP_1) | instid1(VALU_DEP_3)
	v_mul_f64_e32 v[80:81], s[22:23], v[76:77]
	v_mul_f64_e32 v[76:77], s[18:19], v[76:77]
	v_fma_f64 v[34:35], v[116:117], s[14:15], v[34:35]
	s_delay_alu instid0(VALU_DEP_3) | instskip(NEXT) | instid1(VALU_DEP_3)
	v_fma_f64 v[80:81], v[78:79], s[18:19], v[80:81]
	v_fma_f64 v[82:83], v[78:79], s[20:21], v[76:77]
	v_fma_f64 v[76:77], v[58:59], s[20:21], v[16:17]
	v_fma_f64 v[16:17], v[58:59], s[22:23], v[16:17]
	v_fma_f64 v[78:79], v[92:93], s[22:23], v[18:19]
	v_fma_f64 v[18:19], v[92:93], s[20:21], v[18:19]
	v_fma_f64 v[32:33], v[32:33], s[18:19], v[34:35]
	v_mul_f64_e32 v[34:35], s[22:23], v[22:23]
	v_mul_f64_e32 v[22:23], s[26:27], v[22:23]
	v_fma_f64 v[76:77], v[94:95], s[16:17], v[76:77]
	v_fma_f64 v[16:17], v[94:95], s[14:15], v[16:17]
	v_fma_f64 v[78:79], v[96:97], s[14:15], v[78:79]
	v_fma_f64 v[18:19], v[96:97], s[16:17], v[18:19]
	v_fma_f64 v[34:35], v[32:33], s[26:27], v[34:35]
	v_fma_f64 v[22:23], v[32:33], s[20:21], v[22:23]
	v_fma_f64 v[88:89], v[86:87], s[18:19], v[76:77]
	v_fma_f64 v[16:17], v[86:87], s[18:19], v[16:17]
	v_fma_f64 v[106:107], v[84:85], s[18:19], v[78:79]
	v_fma_f64 v[18:19], v[84:85], s[18:19], v[18:19]
	s_delay_alu instid0(VALU_DEP_4)
	v_add_f64_e32 v[76:77], v[88:89], v[80:81]
	v_add_f64_e64 v[80:81], v[88:89], -v[80:81]
	v_add_f64_e32 v[84:85], v[16:17], v[34:35]
	v_add_f64_e64 v[88:89], v[16:17], -v[34:35]
	v_fma_f64 v[16:17], v[20:21], s[22:23], v[108:109]
	v_add_f64_e32 v[86:87], v[18:19], v[22:23]
	v_add_f64_e64 v[90:91], v[18:19], -v[22:23]
	v_fma_f64 v[18:19], v[94:95], s[20:21], v[56:57]
	v_fma_f64 v[22:23], v[116:117], s[20:21], v[100:101]
	;; [unrolled: 1-line block ×3, first 2 shown]
	v_add_f64_e32 v[78:79], v[106:107], v[82:83]
	v_add_f64_e64 v[82:83], v[106:107], -v[82:83]
	v_fma_f64 v[16:17], v[110:111], s[16:17], v[16:17]
	v_fma_f64 v[18:19], v[58:59], s[14:15], v[18:19]
	;; [unrolled: 1-line block ×4, first 2 shown]
	s_delay_alu instid0(VALU_DEP_4) | instskip(NEXT) | instid1(VALU_DEP_4)
	v_fma_f64 v[16:17], v[112:113], s[18:19], v[16:17]
	v_fma_f64 v[18:19], v[28:29], s[18:19], v[18:19]
	s_delay_alu instid0(VALU_DEP_4) | instskip(NEXT) | instid1(VALU_DEP_4)
	v_fma_f64 v[22:23], v[104:105], s[18:19], v[22:23]
	v_fma_f64 v[20:21], v[30:31], s[18:19], v[20:21]
	s_delay_alu instid0(VALU_DEP_4) | instskip(SKIP_1) | instid1(VALU_DEP_2)
	v_mul_f64_e32 v[28:29], s[16:17], v[16:17]
	v_mul_f64_e32 v[16:17], s[28:29], v[16:17]
	v_fma_f64 v[28:29], v[22:23], s[28:29], v[28:29]
	s_delay_alu instid0(VALU_DEP_2) | instskip(NEXT) | instid1(VALU_DEP_2)
	v_fma_f64 v[16:17], v[22:23], s[14:15], v[16:17]
	v_add_f64_e32 v[92:93], v[18:19], v[28:29]
	s_delay_alu instid0(VALU_DEP_2)
	v_add_f64_e32 v[94:95], v[20:21], v[16:17]
	v_add_f64_e64 v[96:97], v[18:19], -v[28:29]
	v_add_f64_e64 v[98:99], v[20:21], -v[16:17]
	ds_load_b128 v[100:103], v152 offset:5184
	ds_load_b128 v[56:59], v152 offset:6480
	;; [unrolled: 1-line block ×10, first 2 shown]
	global_wb scope:SCOPE_SE
	s_wait_dscnt 0x0
	s_barrier_signal -1
	s_barrier_wait -1
	global_inv scope:SCOPE_SE
	scratch_load_b32 v120, off, off offset:488 th:TH_LOAD_LU ; 4-byte Folded Reload
	s_wait_loadcnt 0x0
	ds_store_b128 v120, v[24:27]
	ds_store_b128 v120, v[64:67] offset:80
	ds_store_b128 v120, v[68:71] offset:16
	;; [unrolled: 1-line block ×9, first 2 shown]
	v_add_f64_e32 v[24:25], v[52:53], v[12:13]
	v_add_f64_e32 v[26:27], v[54:55], v[14:15]
	;; [unrolled: 1-line block ×3, first 2 shown]
	v_add_f64_e64 v[66:67], v[12:13], -v[4:5]
	v_add_f64_e64 v[68:69], v[4:5], -v[12:13]
	;; [unrolled: 1-line block ×5, first 2 shown]
	v_add_f64_e32 v[70:71], v[6:7], v[10:11]
	v_add_f64_e64 v[76:77], v[14:15], -v[6:7]
	v_add_f64_e64 v[78:79], v[6:7], -v[14:15]
	;; [unrolled: 1-line block ×4, first 2 shown]
	v_add_f64_e32 v[92:93], v[110:111], v[114:115]
	v_add_f64_e64 v[86:87], v[110:111], -v[114:115]
	v_add_f64_e64 v[88:89], v[104:105], -v[108:109]
	;; [unrolled: 1-line block ×8, first 2 shown]
	v_add_f64_e32 v[24:25], v[24:25], v[4:5]
	v_add_f64_e32 v[26:27], v[26:27], v[6:7]
	;; [unrolled: 1-line block ×4, first 2 shown]
	v_fma_f64 v[124:125], v[64:65], -0.5, v[52:53]
	v_fma_f64 v[126:127], v[70:71], -0.5, v[54:55]
	;; [unrolled: 1-line block ×3, first 2 shown]
	v_add_f64_e32 v[88:89], v[88:89], v[120:121]
	v_add_f64_e32 v[96:97], v[96:97], v[122:123]
	;; [unrolled: 1-line block ×4, first 2 shown]
	v_add_f64_e64 v[24:25], v[0:1], -v[8:9]
	v_add_f64_e64 v[26:27], v[8:9], -v[0:1]
	;; [unrolled: 1-line block ×3, first 2 shown]
	v_fma_f64 v[64:65], v[4:5], -0.5, v[52:53]
	v_fma_f64 v[70:71], v[6:7], -0.5, v[54:55]
	v_add_f64_e32 v[10:11], v[12:13], v[0:1]
	v_add_f64_e32 v[0:1], v[100:101], v[104:105]
	;; [unrolled: 1-line block ×7, first 2 shown]
	v_add_f64_e64 v[108:109], v[106:107], -v[118:119]
	v_add_f64_e32 v[2:3], v[2:3], v[110:111]
	v_add_f64_e32 v[110:111], v[104:105], v[116:117]
	v_add_f64_e64 v[104:105], v[104:105], -v[116:117]
	v_fma_f64 v[128:129], v[14:15], -0.5, v[100:101]
	v_add_f64_e32 v[106:107], v[106:107], v[118:119]
	v_add_f64_e32 v[0:1], v[0:1], v[112:113]
	v_add_f64_e64 v[112:113], v[112:113], -v[116:117]
	v_add_f64_e32 v[2:3], v[2:3], v[114:115]
	v_add_f64_e64 v[114:115], v[114:115], -v[118:119]
	v_fma_f64 v[8:9], v[104:105], s[20:21], v[92:93]
	v_fma_f64 v[100:101], v[110:111], -0.5, v[100:101]
	v_fma_f64 v[102:103], v[106:107], -0.5, v[102:103]
	v_add_f64_e32 v[106:107], v[66:67], v[24:25]
	v_add_f64_e32 v[66:67], v[68:69], v[26:27]
	;; [unrolled: 1-line block ×7, first 2 shown]
	v_fma_f64 v[8:9], v[94:95], s[14:15], v[8:9]
	v_fma_f64 v[26:27], v[86:87], s[20:21], v[100:101]
	v_add_f64_e32 v[0:1], v[10:11], v[116:117]
	v_add_f64_e64 v[4:5], v[10:11], -v[116:117]
	v_fma_f64 v[10:11], v[108:109], s[22:23], v[128:129]
	v_add_f64_e32 v[2:3], v[12:13], v[118:119]
	v_fma_f64 v[8:9], v[96:97], s[18:19], v[8:9]
	v_add_f64_e64 v[6:7], v[12:13], -v[118:119]
	v_fma_f64 v[26:27], v[108:109], s[16:17], v[26:27]
	v_fma_f64 v[10:11], v[86:87], s[16:17], v[10:11]
	s_delay_alu instid0(VALU_DEP_4) | instskip(NEXT) | instid1(VALU_DEP_3)
	v_mul_f64_e32 v[12:13], s[16:17], v[8:9]
	v_fma_f64 v[26:27], v[78:79], s[18:19], v[26:27]
	s_delay_alu instid0(VALU_DEP_3) | instskip(NEXT) | instid1(VALU_DEP_1)
	v_fma_f64 v[10:11], v[88:89], s[18:19], v[10:11]
	v_fma_f64 v[12:13], v[10:11], s[24:25], v[12:13]
	v_mul_f64_e32 v[10:11], s[14:15], v[10:11]
	s_delay_alu instid0(VALU_DEP_1) | instskip(SKIP_2) | instid1(VALU_DEP_2)
	v_fma_f64 v[14:15], v[8:9], s[24:25], v[10:11]
	v_fma_f64 v[8:9], v[80:81], s[22:23], v[124:125]
	v_fma_f64 v[10:11], v[82:83], s[20:21], v[126:127]
	v_fma_f64 v[8:9], v[72:73], s[16:17], v[8:9]
	s_delay_alu instid0(VALU_DEP_2) | instskip(NEXT) | instid1(VALU_DEP_2)
	v_fma_f64 v[10:11], v[74:75], s[14:15], v[10:11]
	v_fma_f64 v[24:25], v[106:107], s[18:19], v[8:9]
	s_delay_alu instid0(VALU_DEP_2) | instskip(NEXT) | instid1(VALU_DEP_2)
	v_fma_f64 v[52:53], v[76:77], s[18:19], v[10:11]
	v_add_f64_e32 v[8:9], v[24:25], v[12:13]
	v_add_f64_e64 v[12:13], v[24:25], -v[12:13]
	v_fma_f64 v[24:25], v[94:95], s[22:23], v[102:103]
	s_delay_alu instid0(VALU_DEP_4) | instskip(SKIP_1) | instid1(VALU_DEP_3)
	v_add_f64_e32 v[10:11], v[52:53], v[14:15]
	v_add_f64_e64 v[14:15], v[52:53], -v[14:15]
	v_fma_f64 v[24:25], v[104:105], s[14:15], v[24:25]
	s_delay_alu instid0(VALU_DEP_1) | instskip(NEXT) | instid1(VALU_DEP_1)
	v_fma_f64 v[24:25], v[84:85], s[18:19], v[24:25]
	v_mul_f64_e32 v[52:53], s[22:23], v[24:25]
	v_mul_f64_e32 v[24:25], s[18:19], v[24:25]
	s_delay_alu instid0(VALU_DEP_2) | instskip(NEXT) | instid1(VALU_DEP_2)
	v_fma_f64 v[52:53], v[26:27], s[18:19], v[52:53]
	v_fma_f64 v[54:55], v[26:27], s[20:21], v[24:25]
	;; [unrolled: 1-line block ×5, first 2 shown]
	s_delay_alu instid0(VALU_DEP_3) | instskip(NEXT) | instid1(VALU_DEP_3)
	v_fma_f64 v[24:25], v[80:81], s[16:17], v[24:25]
	v_fma_f64 v[64:65], v[80:81], s[14:15], v[64:65]
	s_delay_alu instid0(VALU_DEP_3) | instskip(SKIP_1) | instid1(VALU_DEP_4)
	v_fma_f64 v[26:27], v[82:83], s[14:15], v[26:27]
	v_fma_f64 v[80:81], v[80:81], s[20:21], v[124:125]
	;; [unrolled: 1-line block ×3, first 2 shown]
	s_delay_alu instid0(VALU_DEP_3) | instskip(NEXT) | instid1(VALU_DEP_3)
	v_fma_f64 v[98:99], v[68:69], s[18:19], v[26:27]
	v_fma_f64 v[72:73], v[72:73], s[14:15], v[80:81]
	s_delay_alu instid0(VALU_DEP_3)
	v_add_f64_e32 v[24:25], v[90:91], v[52:53]
	v_add_f64_e64 v[52:53], v[90:91], -v[52:53]
	v_fma_f64 v[90:91], v[66:67], s[18:19], v[64:65]
	v_fma_f64 v[64:65], v[74:75], s[20:21], v[70:71]
	;; [unrolled: 1-line block ×3, first 2 shown]
	v_add_f64_e32 v[26:27], v[98:99], v[54:55]
	v_add_f64_e64 v[54:55], v[98:99], -v[54:55]
	s_delay_alu instid0(VALU_DEP_4) | instskip(NEXT) | instid1(VALU_DEP_4)
	v_fma_f64 v[64:65], v[82:83], s[16:17], v[64:65]
	v_fma_f64 v[66:67], v[108:109], s[14:15], v[66:67]
	v_fma_f64 v[82:83], v[82:83], s[22:23], v[126:127]
	s_delay_alu instid0(VALU_DEP_3) | instskip(SKIP_1) | instid1(VALU_DEP_4)
	v_fma_f64 v[70:71], v[68:69], s[18:19], v[64:65]
	v_fma_f64 v[64:65], v[94:95], s[20:21], v[102:103]
	v_fma_f64 v[66:67], v[78:79], s[18:19], v[66:67]
	s_delay_alu instid0(VALU_DEP_4) | instskip(SKIP_1) | instid1(VALU_DEP_4)
	v_fma_f64 v[74:75], v[74:75], s[16:17], v[82:83]
	v_fma_f64 v[82:83], v[106:107], s[18:19], v[72:73]
	;; [unrolled: 1-line block ×3, first 2 shown]
	s_delay_alu instid0(VALU_DEP_1) | instskip(SKIP_1) | instid1(VALU_DEP_2)
	v_fma_f64 v[64:65], v[84:85], s[18:19], v[64:65]
	v_fma_f64 v[84:85], v[108:109], s[20:21], v[128:129]
	v_mul_f64_e32 v[68:69], s[22:23], v[64:65]
	v_mul_f64_e32 v[64:65], s[26:27], v[64:65]
	s_delay_alu instid0(VALU_DEP_3) | instskip(SKIP_1) | instid1(VALU_DEP_4)
	v_fma_f64 v[80:81], v[86:87], s[14:15], v[84:85]
	v_fma_f64 v[84:85], v[76:77], s[18:19], v[74:75]
	;; [unrolled: 1-line block ×3, first 2 shown]
	s_delay_alu instid0(VALU_DEP_4) | instskip(NEXT) | instid1(VALU_DEP_4)
	v_fma_f64 v[78:79], v[66:67], s[20:21], v[64:65]
	v_fma_f64 v[72:73], v[88:89], s[18:19], v[80:81]
	s_delay_alu instid0(VALU_DEP_3) | instskip(NEXT) | instid1(VALU_DEP_3)
	v_add_f64_e32 v[64:65], v[90:91], v[68:69]
	v_add_f64_e32 v[66:67], v[70:71], v[78:79]
	v_add_f64_e64 v[70:71], v[70:71], -v[78:79]
	v_fma_f64 v[78:79], v[104:105], s[22:23], v[92:93]
	v_add_f64_e64 v[68:69], v[90:91], -v[68:69]
	s_delay_alu instid0(VALU_DEP_2) | instskip(NEXT) | instid1(VALU_DEP_1)
	v_fma_f64 v[78:79], v[94:95], s[16:17], v[78:79]
	v_fma_f64 v[78:79], v[96:97], s[18:19], v[78:79]
	s_delay_alu instid0(VALU_DEP_1) | instskip(SKIP_1) | instid1(VALU_DEP_2)
	v_mul_f64_e32 v[74:75], s[16:17], v[78:79]
	v_mul_f64_e32 v[76:77], s[28:29], v[78:79]
	v_fma_f64 v[78:79], v[72:73], s[28:29], v[74:75]
	s_delay_alu instid0(VALU_DEP_2) | instskip(NEXT) | instid1(VALU_DEP_2)
	v_fma_f64 v[80:81], v[72:73], s[14:15], v[76:77]
	v_add_f64_e32 v[72:73], v[82:83], v[78:79]
	s_delay_alu instid0(VALU_DEP_2)
	v_add_f64_e32 v[74:75], v[84:85], v[80:81]
	v_add_f64_e64 v[76:77], v[82:83], -v[78:79]
	v_add_f64_e64 v[78:79], v[84:85], -v[80:81]
	scratch_load_b32 v80, off, off offset:1428 th:TH_LOAD_LU ; 4-byte Folded Reload
	s_wait_loadcnt 0x0
	ds_store_b128 v80, v[0:3]
	ds_store_b128 v80, v[8:11] offset:16
	ds_store_b128 v80, v[24:27] offset:32
	;; [unrolled: 1-line block ×9, first 2 shown]
	v_add_f64_e32 v[0:1], v[60:61], v[48:49]
	v_add_f64_e32 v[2:3], v[62:63], v[50:51]
	;; [unrolled: 1-line block ×3, first 2 shown]
	v_add_f64_e64 v[52:53], v[42:43], -v[46:47]
	v_add_f64_e64 v[8:9], v[48:49], -v[40:41]
	;; [unrolled: 1-line block ×3, first 2 shown]
	v_add_f64_e32 v[6:7], v[42:43], v[46:47]
	v_add_f64_e64 v[10:11], v[50:51], -v[42:43]
	v_add_f64_e64 v[26:27], v[42:43], -v[50:51]
	v_add_f64_e32 v[12:13], v[48:49], v[36:37]
	v_add_f64_e64 v[48:49], v[48:49], -v[36:37]
	v_add_f64_e32 v[14:15], v[50:51], v[38:39]
	;; [unrolled: 2-line block ×3, first 2 shown]
	v_add_f64_e32 v[64:65], v[16:17], v[32:33]
	v_add_f64_e64 v[66:67], v[18:19], -v[34:35]
	v_add_f64_e64 v[68:69], v[20:21], -v[16:17]
	;; [unrolled: 1-line block ×5, first 2 shown]
	v_add_f64_e32 v[78:79], v[20:21], v[28:29]
	v_add_f64_e64 v[80:81], v[20:21], -v[28:29]
	v_add_f64_e64 v[82:83], v[30:31], -v[34:35]
	v_add_f64_e32 v[0:1], v[0:1], v[40:41]
	v_add_f64_e32 v[2:3], v[2:3], v[42:43]
	v_add_f64_e64 v[40:41], v[40:41], -v[44:45]
	v_add_f64_e64 v[42:43], v[50:51], -v[38:39]
	v_add_f64_e64 v[50:51], v[36:37], -v[44:45]
	v_fma_f64 v[84:85], v[4:5], -0.5, v[60:61]
	v_fma_f64 v[86:87], v[6:7], -0.5, v[62:63]
	;; [unrolled: 1-line block ×6, first 2 shown]
	v_add_f64_e32 v[0:1], v[0:1], v[44:45]
	v_add_f64_e32 v[2:3], v[2:3], v[46:47]
	v_add_f64_e64 v[44:45], v[44:45], -v[36:37]
	v_add_f64_e64 v[46:47], v[46:47], -v[38:39]
	s_delay_alu instid0(VALU_DEP_4)
	v_add_f64_e32 v[36:37], v[0:1], v[36:37]
	v_add_f64_e32 v[0:1], v[56:57], v[20:21]
	;; [unrolled: 1-line block ×5, first 2 shown]
	v_fma_f64 v[56:57], v[78:79], -0.5, v[56:57]
	v_add_f64_e32 v[24:25], v[24:25], v[44:45]
	v_add_f64_e32 v[26:27], v[26:27], v[46:47]
	v_fma_f64 v[44:45], v[76:77], s[20:21], v[64:65]
	v_add_f64_e32 v[0:1], v[0:1], v[16:17]
	v_add_f64_e64 v[16:17], v[22:23], -v[18:19]
	v_add_f64_e32 v[2:3], v[2:3], v[18:19]
	v_add_f64_e64 v[18:19], v[18:19], -v[22:23]
	v_add_f64_e64 v[22:23], v[28:29], -v[32:33]
	v_fma_f64 v[58:59], v[20:21], -0.5, v[58:59]
	v_add_f64_e32 v[0:1], v[0:1], v[32:33]
	v_add_f64_e64 v[32:33], v[32:33], -v[28:29]
	v_add_f64_e32 v[2:3], v[2:3], v[34:35]
	v_add_f64_e64 v[34:35], v[34:35], -v[30:31]
	s_delay_alu instid0(VALU_DEP_4) | instskip(NEXT) | instid1(VALU_DEP_3)
	v_add_f64_e32 v[28:29], v[0:1], v[28:29]
	v_add_f64_e32 v[30:31], v[2:3], v[30:31]
	s_delay_alu instid0(VALU_DEP_2)
	v_add_f64_e32 v[0:1], v[36:37], v[28:29]
	v_add_f64_e64 v[4:5], v[36:37], -v[28:29]
	v_add_f64_e32 v[36:37], v[8:9], v[50:51]
	v_fma_f64 v[8:9], v[80:81], s[20:21], v[72:73]
	v_add_f64_e32 v[2:3], v[38:39], v[30:31]
	v_add_f64_e64 v[6:7], v[38:39], -v[30:31]
	v_add_f64_e32 v[38:39], v[10:11], v[54:55]
	v_add_f64_e32 v[54:55], v[16:17], v[82:83]
	v_fma_f64 v[10:11], v[76:77], s[22:23], v[64:65]
	v_add_f64_e32 v[50:51], v[68:69], v[22:23]
	v_add_f64_e32 v[30:31], v[18:19], v[34:35]
	v_fma_f64 v[18:19], v[66:67], s[20:21], v[56:57]
	v_add_f64_e32 v[28:29], v[70:71], v[32:33]
	v_fma_f64 v[8:9], v[74:75], s[14:15], v[8:9]
	v_fma_f64 v[10:11], v[66:67], s[16:17], v[10:11]
	s_delay_alu instid0(VALU_DEP_4) | instskip(NEXT) | instid1(VALU_DEP_3)
	v_fma_f64 v[18:19], v[76:77], s[16:17], v[18:19]
	v_fma_f64 v[8:9], v[54:55], s[18:19], v[8:9]
	s_delay_alu instid0(VALU_DEP_3) | instskip(NEXT) | instid1(VALU_DEP_3)
	v_fma_f64 v[10:11], v[50:51], s[18:19], v[10:11]
	v_fma_f64 v[18:19], v[28:29], s[18:19], v[18:19]
	s_delay_alu instid0(VALU_DEP_3) | instskip(NEXT) | instid1(VALU_DEP_1)
	v_mul_f64_e32 v[12:13], s[16:17], v[8:9]
	v_fma_f64 v[12:13], v[10:11], s[24:25], v[12:13]
	v_mul_f64_e32 v[10:11], s[14:15], v[10:11]
	s_delay_alu instid0(VALU_DEP_1) | instskip(SKIP_2) | instid1(VALU_DEP_2)
	v_fma_f64 v[14:15], v[8:9], s[24:25], v[10:11]
	v_fma_f64 v[8:9], v[42:43], s[22:23], v[84:85]
	v_fma_f64 v[10:11], v[48:49], s[20:21], v[86:87]
	v_fma_f64 v[8:9], v[52:53], s[16:17], v[8:9]
	s_delay_alu instid0(VALU_DEP_2) | instskip(NEXT) | instid1(VALU_DEP_2)
	v_fma_f64 v[10:11], v[40:41], s[14:15], v[10:11]
	v_fma_f64 v[16:17], v[36:37], s[18:19], v[8:9]
	s_delay_alu instid0(VALU_DEP_2) | instskip(NEXT) | instid1(VALU_DEP_2)
	v_fma_f64 v[20:21], v[38:39], s[18:19], v[10:11]
	v_add_f64_e32 v[8:9], v[16:17], v[12:13]
	v_add_f64_e64 v[12:13], v[16:17], -v[12:13]
	v_fma_f64 v[16:17], v[74:75], s[22:23], v[58:59]
	s_delay_alu instid0(VALU_DEP_4) | instskip(SKIP_1) | instid1(VALU_DEP_3)
	v_add_f64_e32 v[10:11], v[20:21], v[14:15]
	v_add_f64_e64 v[14:15], v[20:21], -v[14:15]
	v_fma_f64 v[16:17], v[80:81], s[14:15], v[16:17]
	s_delay_alu instid0(VALU_DEP_1) | instskip(NEXT) | instid1(VALU_DEP_1)
	v_fma_f64 v[16:17], v[30:31], s[18:19], v[16:17]
	v_mul_f64_e32 v[20:21], s[22:23], v[16:17]
	v_mul_f64_e32 v[16:17], s[18:19], v[16:17]
	s_delay_alu instid0(VALU_DEP_2) | instskip(NEXT) | instid1(VALU_DEP_2)
	v_fma_f64 v[20:21], v[18:19], s[18:19], v[20:21]
	v_fma_f64 v[22:23], v[18:19], s[20:21], v[16:17]
	;; [unrolled: 1-line block ×4, first 2 shown]
	s_delay_alu instid0(VALU_DEP_2) | instskip(NEXT) | instid1(VALU_DEP_2)
	v_fma_f64 v[16:17], v[42:43], s[16:17], v[16:17]
	v_fma_f64 v[18:19], v[48:49], s[14:15], v[18:19]
	s_delay_alu instid0(VALU_DEP_2) | instskip(NEXT) | instid1(VALU_DEP_2)
	v_fma_f64 v[32:33], v[24:25], s[18:19], v[16:17]
	v_fma_f64 v[34:35], v[26:27], s[18:19], v[18:19]
	s_delay_alu instid0(VALU_DEP_2) | instskip(SKIP_2) | instid1(VALU_DEP_4)
	v_add_f64_e32 v[16:17], v[32:33], v[20:21]
	v_add_f64_e64 v[20:21], v[32:33], -v[20:21]
	v_fma_f64 v[32:33], v[52:53], s[22:23], v[60:61]
	v_add_f64_e32 v[18:19], v[34:35], v[22:23]
	v_add_f64_e64 v[22:23], v[34:35], -v[22:23]
	s_delay_alu instid0(VALU_DEP_3) | instskip(NEXT) | instid1(VALU_DEP_1)
	v_fma_f64 v[32:33], v[42:43], s[14:15], v[32:33]
	v_fma_f64 v[32:33], v[24:25], s[18:19], v[32:33]
	;; [unrolled: 1-line block ×3, first 2 shown]
	s_delay_alu instid0(VALU_DEP_1) | instskip(NEXT) | instid1(VALU_DEP_1)
	v_fma_f64 v[24:25], v[48:49], s[16:17], v[24:25]
	v_fma_f64 v[34:35], v[26:27], s[18:19], v[24:25]
	;; [unrolled: 1-line block ×4, first 2 shown]
	s_delay_alu instid0(VALU_DEP_2) | instskip(NEXT) | instid1(VALU_DEP_2)
	v_fma_f64 v[24:25], v[80:81], s[16:17], v[24:25]
	v_fma_f64 v[26:27], v[76:77], s[14:15], v[26:27]
	s_delay_alu instid0(VALU_DEP_2) | instskip(NEXT) | instid1(VALU_DEP_2)
	v_fma_f64 v[24:25], v[30:31], s[18:19], v[24:25]
	v_fma_f64 v[26:27], v[28:29], s[18:19], v[26:27]
	s_delay_alu instid0(VALU_DEP_2) | instskip(SKIP_1) | instid1(VALU_DEP_2)
	v_mul_f64_e32 v[28:29], s[22:23], v[24:25]
	v_mul_f64_e32 v[24:25], s[26:27], v[24:25]
	v_fma_f64 v[28:29], v[26:27], s[26:27], v[28:29]
	s_delay_alu instid0(VALU_DEP_2) | instskip(NEXT) | instid1(VALU_DEP_2)
	v_fma_f64 v[30:31], v[26:27], s[20:21], v[24:25]
	v_add_f64_e32 v[24:25], v[32:33], v[28:29]
	v_add_f64_e64 v[28:29], v[32:33], -v[28:29]
	v_fma_f64 v[32:33], v[80:81], s[22:23], v[72:73]
	s_delay_alu instid0(VALU_DEP_4) | instskip(SKIP_4) | instid1(VALU_DEP_3)
	v_add_f64_e32 v[26:27], v[34:35], v[30:31]
	v_add_f64_e64 v[30:31], v[34:35], -v[30:31]
	v_fma_f64 v[34:35], v[42:43], s[20:21], v[84:85]
	v_fma_f64 v[42:43], v[48:49], s[22:23], v[86:87]
	v_fma_f64 v[32:33], v[74:75], s[16:17], v[32:33]
	v_fma_f64 v[34:35], v[52:53], s[14:15], v[34:35]
	s_delay_alu instid0(VALU_DEP_3) | instskip(SKIP_1) | instid1(VALU_DEP_4)
	v_fma_f64 v[40:41], v[40:41], s[16:17], v[42:43]
	v_fma_f64 v[42:43], v[66:67], s[14:15], v[44:45]
	;; [unrolled: 1-line block ×3, first 2 shown]
	s_delay_alu instid0(VALU_DEP_4) | instskip(NEXT) | instid1(VALU_DEP_4)
	v_fma_f64 v[36:37], v[36:37], s[18:19], v[34:35]
	v_fma_f64 v[38:39], v[38:39], s[18:19], v[40:41]
	s_delay_alu instid0(VALU_DEP_4) | instskip(NEXT) | instid1(VALU_DEP_4)
	v_fma_f64 v[34:35], v[50:51], s[18:19], v[42:43]
	v_mul_f64_e32 v[40:41], s[16:17], v[32:33]
	v_mul_f64_e32 v[32:33], s[28:29], v[32:33]
	s_delay_alu instid0(VALU_DEP_2) | instskip(NEXT) | instid1(VALU_DEP_2)
	v_fma_f64 v[40:41], v[34:35], s[28:29], v[40:41]
	v_fma_f64 v[42:43], v[34:35], s[14:15], v[32:33]
	s_delay_alu instid0(VALU_DEP_2)
	v_add_f64_e32 v[32:33], v[36:37], v[40:41]
	v_add_f64_e64 v[36:37], v[36:37], -v[40:41]
	scratch_load_b32 v40, off, off offset:1392 th:TH_LOAD_LU ; 4-byte Folded Reload
	v_add_f64_e32 v[34:35], v[38:39], v[42:43]
	v_add_f64_e64 v[38:39], v[38:39], -v[42:43]
	s_wait_loadcnt 0x0
	ds_store_b128 v40, v[0:3]
	ds_store_b128 v40, v[8:11] offset:16
	ds_store_b128 v40, v[16:19] offset:32
	;; [unrolled: 1-line block ×9, first 2 shown]
	global_wb scope:SCOPE_SE
	s_wait_dscnt 0x0
	s_barrier_signal -1
	s_barrier_wait -1
	global_inv scope:SCOPE_SE
	ds_load_b128 v[0:3], v152 offset:12960
	ds_load_b128 v[4:7], v152 offset:14256
	scratch_load_b128 v[10:13], off, off offset:1184 th:TH_LOAD_LU ; 16-byte Folded Reload
	s_wait_loadcnt_dscnt 0x1
	v_mul_f64_e32 v[8:9], v[12:13], v[2:3]
	s_delay_alu instid0(VALU_DEP_1) | instskip(SKIP_1) | instid1(VALU_DEP_1)
	v_fma_f64 v[24:25], v[10:11], v[0:1], v[8:9]
	v_mul_f64_e32 v[0:1], v[12:13], v[0:1]
	v_fma_f64 v[40:41], v[10:11], v[2:3], -v[0:1]
	ds_load_b128 v[0:3], v152 offset:25920
	ds_load_b128 v[8:11], v152 offset:27216
	scratch_load_b128 v[14:17], off, off offset:1152 th:TH_LOAD_LU ; 16-byte Folded Reload
	s_wait_loadcnt_dscnt 0x1
	v_mul_f64_e32 v[12:13], v[16:17], v[2:3]
	s_delay_alu instid0(VALU_DEP_1) | instskip(SKIP_1) | instid1(VALU_DEP_2)
	v_fma_f64 v[42:43], v[14:15], v[0:1], v[12:13]
	v_mul_f64_e32 v[0:1], v[16:17], v[0:1]
	v_add_f64_e32 v[46:47], v[24:25], v[42:43]
	s_delay_alu instid0(VALU_DEP_2)
	v_fma_f64 v[44:45], v[14:15], v[2:3], -v[0:1]
	scratch_load_b128 v[12:15], off, off offset:1216 th:TH_LOAD_LU ; 16-byte Folded Reload
	v_add_f64_e32 v[48:49], v[40:41], v[44:45]
	v_add_f64_e64 v[50:51], v[40:41], -v[44:45]
	s_wait_loadcnt 0x0
	v_mul_f64_e32 v[0:1], v[14:15], v[6:7]
	s_delay_alu instid0(VALU_DEP_1)
	v_fma_f64 v[80:81], v[12:13], v[4:5], v[0:1]
	v_mul_f64_e32 v[0:1], v[14:15], v[4:5]
	scratch_load_b128 v[2:5], off, off offset:1232 th:TH_LOAD_LU ; 16-byte Folded Reload
	v_fma_f64 v[82:83], v[12:13], v[6:7], -v[0:1]
	s_wait_loadcnt_dscnt 0x0
	v_mul_f64_e32 v[0:1], v[4:5], v[10:11]
	s_delay_alu instid0(VALU_DEP_1) | instskip(SKIP_1) | instid1(VALU_DEP_1)
	v_fma_f64 v[84:85], v[2:3], v[8:9], v[0:1]
	v_mul_f64_e32 v[0:1], v[4:5], v[8:9]
	v_fma_f64 v[86:87], v[2:3], v[10:11], -v[0:1]
	ds_load_b128 v[0:3], v152 offset:15552
	ds_load_b128 v[4:7], v152 offset:16848
	scratch_load_b128 v[10:13], off, off offset:1200 th:TH_LOAD_LU ; 16-byte Folded Reload
	s_wait_loadcnt_dscnt 0x1
	v_mul_f64_e32 v[8:9], v[12:13], v[2:3]
	s_delay_alu instid0(VALU_DEP_1) | instskip(SKIP_1) | instid1(VALU_DEP_1)
	v_fma_f64 v[88:89], v[10:11], v[0:1], v[8:9]
	v_mul_f64_e32 v[0:1], v[12:13], v[0:1]
	v_fma_f64 v[90:91], v[10:11], v[2:3], -v[0:1]
	ds_load_b128 v[0:3], v152 offset:28512
	ds_load_b128 v[8:11], v152 offset:29808
	scratch_load_b128 v[14:17], off, off offset:1168 th:TH_LOAD_LU ; 16-byte Folded Reload
	s_wait_loadcnt_dscnt 0x1
	v_mul_f64_e32 v[12:13], v[16:17], v[2:3]
	s_delay_alu instid0(VALU_DEP_1) | instskip(SKIP_1) | instid1(VALU_DEP_1)
	v_fma_f64 v[92:93], v[14:15], v[0:1], v[12:13]
	v_mul_f64_e32 v[0:1], v[16:17], v[0:1]
	v_fma_f64 v[94:95], v[14:15], v[2:3], -v[0:1]
	scratch_load_b128 v[12:15], off, off offset:1736 th:TH_LOAD_LU ; 16-byte Folded Reload
	s_wait_loadcnt 0x0
	v_mul_f64_e32 v[0:1], v[14:15], v[6:7]
	s_delay_alu instid0(VALU_DEP_1)
	v_fma_f64 v[96:97], v[12:13], v[4:5], v[0:1]
	v_mul_f64_e32 v[0:1], v[14:15], v[4:5]
	scratch_load_b128 v[2:5], off, off offset:1720 th:TH_LOAD_LU ; 16-byte Folded Reload
	v_fma_f64 v[98:99], v[12:13], v[6:7], -v[0:1]
	s_wait_loadcnt_dscnt 0x0
	v_mul_f64_e32 v[0:1], v[4:5], v[10:11]
	s_delay_alu instid0(VALU_DEP_1) | instskip(SKIP_1) | instid1(VALU_DEP_1)
	v_fma_f64 v[100:101], v[2:3], v[8:9], v[0:1]
	v_mul_f64_e32 v[0:1], v[4:5], v[8:9]
	v_fma_f64 v[102:103], v[2:3], v[10:11], -v[0:1]
	ds_load_b128 v[0:3], v152 offset:18144
	ds_load_b128 v[4:7], v152 offset:19440
	scratch_load_b128 v[10:13], off, off offset:1752 th:TH_LOAD_LU ; 16-byte Folded Reload
	s_wait_loadcnt_dscnt 0x1
	v_mul_f64_e32 v[8:9], v[12:13], v[2:3]
	s_delay_alu instid0(VALU_DEP_1) | instskip(SKIP_1) | instid1(VALU_DEP_1)
	v_fma_f64 v[104:105], v[10:11], v[0:1], v[8:9]
	v_mul_f64_e32 v[0:1], v[12:13], v[0:1]
	v_fma_f64 v[106:107], v[10:11], v[2:3], -v[0:1]
	ds_load_b128 v[0:3], v152 offset:31104
	ds_load_b128 v[8:11], v152 offset:32400
	scratch_load_b128 v[14:17], off, off offset:1704 th:TH_LOAD_LU ; 16-byte Folded Reload
	s_wait_loadcnt_dscnt 0x1
	v_mul_f64_e32 v[12:13], v[16:17], v[2:3]
	s_delay_alu instid0(VALU_DEP_1) | instskip(SKIP_1) | instid1(VALU_DEP_1)
	v_fma_f64 v[108:109], v[14:15], v[0:1], v[12:13]
	v_mul_f64_e32 v[0:1], v[16:17], v[0:1]
	v_fma_f64 v[110:111], v[14:15], v[2:3], -v[0:1]
	scratch_load_b128 v[12:15], off, off offset:1784 th:TH_LOAD_LU ; 16-byte Folded Reload
	;; [unrolled: 32-line block ×4, first 2 shown]
	s_wait_loadcnt 0x0
	v_mul_f64_e32 v[0:1], v[38:39], v[6:7]
	v_mul_f64_e32 v[2:3], v[38:39], v[4:5]
	s_delay_alu instid0(VALU_DEP_2) | instskip(NEXT) | instid1(VALU_DEP_2)
	v_fma_f64 v[0:1], v[36:37], v[4:5], v[0:1]
	v_fma_f64 v[4:5], v[36:37], v[6:7], -v[2:3]
	scratch_load_b128 v[36:39], off, off offset:1912 th:TH_LOAD_LU ; 16-byte Folded Reload
	s_wait_loadcnt_dscnt 0x0
	v_mul_f64_e32 v[2:3], v[38:39], v[34:35]
	v_mul_f64_e32 v[6:7], v[38:39], v[32:33]
	s_delay_alu instid0(VALU_DEP_2) | instskip(NEXT) | instid1(VALU_DEP_2)
	v_fma_f64 v[2:3], v[36:37], v[32:33], v[2:3]
	v_fma_f64 v[6:7], v[36:37], v[34:35], -v[6:7]
	ds_load_b128 v[32:35], v152
	ds_load_b128 v[36:39], v152 offset:1296
	s_wait_dscnt 0x1
	v_fma_f64 v[46:47], v[46:47], -0.5, v[32:33]
	v_fma_f64 v[48:49], v[48:49], -0.5, v[34:35]
	v_add_f64_e32 v[34:35], v[34:35], v[40:41]
	v_add_f64_e32 v[32:33], v[32:33], v[24:25]
	v_add_f64_e64 v[24:25], v[24:25], -v[42:43]
	v_fma_f64 v[40:41], v[50:51], s[12:13], v[46:47]
	s_delay_alu instid0(VALU_DEP_4) | instskip(NEXT) | instid1(VALU_DEP_4)
	v_add_f64_e32 v[34:35], v[34:35], v[44:45]
	v_add_f64_e32 v[32:33], v[32:33], v[42:43]
	v_fma_f64 v[44:45], v[50:51], s[2:3], v[46:47]
	v_fma_f64 v[42:43], v[24:25], s[2:3], v[48:49]
	v_fma_f64 v[46:47], v[24:25], s[12:13], v[48:49]
	ds_load_b128 v[48:51], v152 offset:2592
	ds_load_b128 v[52:55], v152 offset:3888
	ds_load_b128 v[56:59], v152 offset:5184
	ds_load_b128 v[60:63], v152 offset:6480
	ds_load_b128 v[64:67], v152 offset:7776
	ds_load_b128 v[68:71], v152 offset:9072
	ds_load_b128 v[72:75], v152 offset:10368
	ds_load_b128 v[76:79], v152 offset:11664
	global_wb scope:SCOPE_SE
	s_wait_dscnt 0x0
	s_barrier_signal -1
	s_barrier_wait -1
	global_inv scope:SCOPE_SE
	scratch_load_b32 v24, off, off offset:1700 th:TH_LOAD_LU ; 4-byte Folded Reload
	s_wait_loadcnt 0x0
	ds_store_b128 v24, v[32:35]
	ds_store_b128 v24, v[40:43] offset:160
	ds_store_b128 v24, v[44:47] offset:320
	v_add_f64_e32 v[24:25], v[80:81], v[84:85]
	v_add_f64_e32 v[32:33], v[82:83], v[86:87]
	v_add_f64_e64 v[44:45], v[80:81], -v[84:85]
	s_delay_alu instid0(VALU_DEP_3) | instskip(NEXT) | instid1(VALU_DEP_3)
	v_fma_f64 v[24:25], v[24:25], -0.5, v[36:37]
	v_fma_f64 v[42:43], v[32:33], -0.5, v[38:39]
	v_add_f64_e32 v[32:33], v[38:39], v[82:83]
	v_add_f64_e32 v[36:37], v[36:37], v[80:81]
	v_add_f64_e64 v[38:39], v[82:83], -v[86:87]
	s_delay_alu instid0(VALU_DEP_3) | instskip(NEXT) | instid1(VALU_DEP_3)
	v_add_f64_e32 v[34:35], v[32:33], v[86:87]
	v_add_f64_e32 v[32:33], v[36:37], v[84:85]
	s_delay_alu instid0(VALU_DEP_3)
	v_fma_f64 v[36:37], v[38:39], s[12:13], v[24:25]
	v_fma_f64 v[40:41], v[38:39], s[2:3], v[24:25]
	scratch_load_b32 v24, off, off offset:1696 th:TH_LOAD_LU ; 4-byte Folded Reload
	v_fma_f64 v[38:39], v[44:45], s[2:3], v[42:43]
	v_fma_f64 v[42:43], v[44:45], s[12:13], v[42:43]
	s_wait_loadcnt 0x0
	ds_store_b128 v24, v[32:35]
	ds_store_b128 v24, v[36:39] offset:160
	ds_store_b128 v24, v[40:43] offset:320
	v_add_f64_e32 v[24:25], v[88:89], v[92:93]
	v_add_f64_e32 v[32:33], v[90:91], v[94:95]
	v_add_f64_e32 v[36:37], v[48:49], v[88:89]
	v_add_f64_e64 v[38:39], v[90:91], -v[94:95]
	v_add_f64_e64 v[44:45], v[88:89], -v[92:93]
	v_fma_f64 v[24:25], v[24:25], -0.5, v[48:49]
	v_fma_f64 v[42:43], v[32:33], -0.5, v[50:51]
	v_add_f64_e32 v[32:33], v[50:51], v[90:91]
	s_delay_alu instid0(VALU_DEP_3) | instskip(NEXT) | instid1(VALU_DEP_2)
	v_fma_f64 v[40:41], v[38:39], s[2:3], v[24:25]
	v_add_f64_e32 v[34:35], v[32:33], v[94:95]
	v_add_f64_e32 v[32:33], v[36:37], v[92:93]
	v_fma_f64 v[36:37], v[38:39], s[12:13], v[24:25]
	scratch_load_b32 v24, off, off offset:1692 th:TH_LOAD_LU ; 4-byte Folded Reload
	v_fma_f64 v[38:39], v[44:45], s[2:3], v[42:43]
	v_fma_f64 v[42:43], v[44:45], s[12:13], v[42:43]
	s_wait_loadcnt 0x0
	ds_store_b128 v24, v[32:35]
	ds_store_b128 v24, v[36:39] offset:160
	ds_store_b128 v24, v[40:43] offset:320
	v_add_f64_e32 v[24:25], v[96:97], v[100:101]
	v_add_f64_e32 v[32:33], v[98:99], v[102:103]
	v_add_f64_e32 v[36:37], v[52:53], v[96:97]
	v_add_f64_e64 v[38:39], v[98:99], -v[102:103]
	v_add_f64_e64 v[44:45], v[96:97], -v[100:101]
	v_fma_f64 v[24:25], v[24:25], -0.5, v[52:53]
	v_fma_f64 v[42:43], v[32:33], -0.5, v[54:55]
	v_add_f64_e32 v[32:33], v[54:55], v[98:99]
	s_delay_alu instid0(VALU_DEP_3) | instskip(NEXT) | instid1(VALU_DEP_2)
	v_fma_f64 v[40:41], v[38:39], s[2:3], v[24:25]
	v_add_f64_e32 v[34:35], v[32:33], v[102:103]
	v_add_f64_e32 v[32:33], v[36:37], v[100:101]
	v_fma_f64 v[36:37], v[38:39], s[12:13], v[24:25]
	scratch_load_b32 v24, off, off offset:1688 th:TH_LOAD_LU ; 4-byte Folded Reload
	v_fma_f64 v[38:39], v[44:45], s[2:3], v[42:43]
	v_fma_f64 v[42:43], v[44:45], s[12:13], v[42:43]
	s_wait_loadcnt 0x0
	ds_store_b128 v24, v[32:35]
	ds_store_b128 v24, v[36:39] offset:160
	ds_store_b128 v24, v[40:43] offset:320
	v_add_f64_e32 v[24:25], v[104:105], v[108:109]
	v_add_f64_e32 v[32:33], v[106:107], v[110:111]
	v_add_f64_e32 v[36:37], v[56:57], v[104:105]
	v_add_f64_e64 v[38:39], v[106:107], -v[110:111]
	v_add_f64_e64 v[44:45], v[104:105], -v[108:109]
	v_fma_f64 v[24:25], v[24:25], -0.5, v[56:57]
	v_fma_f64 v[42:43], v[32:33], -0.5, v[58:59]
	v_add_f64_e32 v[32:33], v[58:59], v[106:107]
	s_delay_alu instid0(VALU_DEP_3) | instskip(NEXT) | instid1(VALU_DEP_2)
	v_fma_f64 v[40:41], v[38:39], s[2:3], v[24:25]
	v_add_f64_e32 v[34:35], v[32:33], v[110:111]
	v_add_f64_e32 v[32:33], v[36:37], v[108:109]
	v_fma_f64 v[36:37], v[38:39], s[12:13], v[24:25]
	scratch_load_b32 v24, off, off offset:1684 th:TH_LOAD_LU ; 4-byte Folded Reload
	v_fma_f64 v[38:39], v[44:45], s[2:3], v[42:43]
	v_fma_f64 v[42:43], v[44:45], s[12:13], v[42:43]
	s_wait_loadcnt 0x0
	ds_store_b128 v24, v[32:35]
	ds_store_b128 v24, v[36:39] offset:160
	ds_store_b128 v24, v[40:43] offset:320
	v_add_f64_e32 v[24:25], v[28:29], v[114:115]
	v_add_f64_e32 v[32:33], v[112:113], v[116:117]
	v_add_f64_e32 v[36:37], v[60:61], v[28:29]
	v_add_f64_e64 v[38:39], v[112:113], -v[116:117]
	v_add_f64_e64 v[28:29], v[28:29], -v[114:115]
	v_fma_f64 v[24:25], v[24:25], -0.5, v[60:61]
	v_fma_f64 v[42:43], v[32:33], -0.5, v[62:63]
	v_add_f64_e32 v[32:33], v[62:63], v[112:113]
	s_delay_alu instid0(VALU_DEP_3) | instskip(NEXT) | instid1(VALU_DEP_2)
	v_fma_f64 v[40:41], v[38:39], s[2:3], v[24:25]
	v_add_f64_e32 v[34:35], v[32:33], v[116:117]
	v_add_f64_e32 v[32:33], v[36:37], v[114:115]
	v_fma_f64 v[36:37], v[38:39], s[12:13], v[24:25]
	scratch_load_b32 v24, off, off offset:1680 th:TH_LOAD_LU ; 4-byte Folded Reload
	v_fma_f64 v[38:39], v[28:29], s[2:3], v[42:43]
	v_fma_f64 v[42:43], v[28:29], s[12:13], v[42:43]
	s_wait_loadcnt 0x0
	ds_store_b128 v24, v[32:35]
	ds_store_b128 v24, v[36:39] offset:160
	ds_store_b128 v24, v[40:43] offset:320
	v_add_f64_e32 v[24:25], v[30:31], v[118:119]
	v_add_f64_e32 v[28:29], v[64:65], v[30:31]
	v_add_f64_e64 v[36:37], v[26:27], -v[120:121]
	v_add_f64_e64 v[38:39], v[30:31], -v[118:119]
	s_delay_alu instid0(VALU_DEP_4) | instskip(SKIP_1) | instid1(VALU_DEP_1)
	v_fma_f64 v[32:33], v[24:25], -0.5, v[64:65]
	v_add_f64_e32 v[24:25], v[26:27], v[120:121]
	v_fma_f64 v[34:35], v[24:25], -0.5, v[66:67]
	v_add_f64_e32 v[24:25], v[66:67], v[26:27]
	s_delay_alu instid0(VALU_DEP_2) | instskip(NEXT) | instid1(VALU_DEP_2)
	v_fma_f64 v[30:31], v[38:39], s[2:3], v[34:35]
	v_add_f64_e32 v[26:27], v[24:25], v[120:121]
	v_add_f64_e32 v[24:25], v[28:29], v[118:119]
	v_fma_f64 v[28:29], v[36:37], s[12:13], v[32:33]
	v_fma_f64 v[32:33], v[36:37], s[2:3], v[32:33]
	scratch_load_b32 v36, off, off offset:1676 th:TH_LOAD_LU ; 4-byte Folded Reload
	v_fma_f64 v[34:35], v[38:39], s[12:13], v[34:35]
	s_wait_loadcnt 0x0
	ds_store_b128 v36, v[24:27]
	ds_store_b128 v36, v[28:31] offset:160
	ds_store_b128 v36, v[32:35] offset:320
	v_add_f64_e32 v[24:25], v[12:13], v[16:17]
	v_add_f64_e32 v[30:31], v[68:69], v[12:13]
	v_add_f64_e64 v[12:13], v[12:13], -v[16:17]
	s_delay_alu instid0(VALU_DEP_3) | instskip(SKIP_1) | instid1(VALU_DEP_1)
	v_fma_f64 v[26:27], v[24:25], -0.5, v[68:69]
	v_add_f64_e32 v[24:25], v[18:19], v[22:23]
	v_fma_f64 v[28:29], v[24:25], -0.5, v[70:71]
	v_add_f64_e32 v[24:25], v[70:71], v[18:19]
	v_add_f64_e64 v[18:19], v[18:19], -v[22:23]
	s_delay_alu instid0(VALU_DEP_2) | instskip(SKIP_1) | instid1(VALU_DEP_3)
	v_add_f64_e32 v[24:25], v[24:25], v[22:23]
	v_add_f64_e32 v[22:23], v[30:31], v[16:17]
	v_fma_f64 v[16:17], v[18:19], s[12:13], v[26:27]
	v_fma_f64 v[26:27], v[18:19], s[2:3], v[26:27]
	;; [unrolled: 1-line block ×4, first 2 shown]
	scratch_load_b32 v12, off, off offset:1672 th:TH_LOAD_LU ; 4-byte Folded Reload
	s_wait_loadcnt 0x0
	ds_store_b128 v12, v[22:25]
	ds_store_b128 v12, v[16:19] offset:160
	ds_store_b128 v12, v[26:29] offset:320
	v_add_f64_e32 v[12:13], v[8:9], v[14:15]
	v_add_f64_e32 v[18:19], v[72:73], v[8:9]
	v_add_f64_e64 v[24:25], v[10:11], -v[20:21]
	v_add_f64_e64 v[8:9], v[8:9], -v[14:15]
	s_delay_alu instid0(VALU_DEP_4) | instskip(SKIP_1) | instid1(VALU_DEP_1)
	v_fma_f64 v[16:17], v[12:13], -0.5, v[72:73]
	v_add_f64_e32 v[12:13], v[10:11], v[20:21]
	v_fma_f64 v[22:23], v[12:13], -0.5, v[74:75]
	v_add_f64_e32 v[12:13], v[74:75], v[10:11]
	v_add_f64_e32 v[10:11], v[18:19], v[14:15]
	v_fma_f64 v[14:15], v[24:25], s[12:13], v[16:17]
	v_fma_f64 v[18:19], v[24:25], s[2:3], v[16:17]
	;; [unrolled: 1-line block ×3, first 2 shown]
	v_add_f64_e32 v[12:13], v[12:13], v[20:21]
	v_fma_f64 v[20:21], v[8:9], s[12:13], v[22:23]
	scratch_load_b32 v8, off, off offset:1668 th:TH_LOAD_LU ; 4-byte Folded Reload
	s_wait_loadcnt 0x0
	ds_store_b128 v8, v[10:13]
	ds_store_b128 v8, v[14:17] offset:160
	ds_store_b128 v8, v[18:21] offset:320
	v_add_f64_e32 v[10:11], v[4:5], v[6:7]
	v_add_f64_e32 v[12:13], v[78:79], v[4:5]
	;; [unrolled: 1-line block ×3, first 2 shown]
	v_add_f64_e64 v[16:17], v[4:5], -v[6:7]
	v_add_f64_e32 v[8:9], v[0:1], v[2:3]
	v_fma_f64 v[10:11], v[10:11], -0.5, v[78:79]
	v_add_f64_e32 v[6:7], v[12:13], v[6:7]
	v_add_f64_e64 v[12:13], v[0:1], -v[2:3]
	v_add_f64_e32 v[4:5], v[14:15], v[2:3]
	v_fma_f64 v[8:9], v[8:9], -0.5, v[76:77]
	s_delay_alu instid0(VALU_DEP_3)
	v_fma_f64 v[2:3], v[12:13], s[2:3], v[10:11]
	v_fma_f64 v[10:11], v[12:13], s[12:13], v[10:11]
	scratch_load_b32 v12, off, off offset:1664 th:TH_LOAD_LU ; 4-byte Folded Reload
	v_fma_f64 v[0:1], v[16:17], s[12:13], v[8:9]
	v_fma_f64 v[8:9], v[16:17], s[2:3], v[8:9]
	s_wait_loadcnt 0x0
	ds_store_b128 v12, v[4:7]
	ds_store_b128 v12, v[0:3] offset:160
	ds_store_b128 v12, v[8:11] offset:320
	global_wb scope:SCOPE_SE
	s_wait_dscnt 0x0
	s_barrier_signal -1
	s_barrier_wait -1
	global_inv scope:SCOPE_SE
	ds_load_b128 v[0:3], v152 offset:12960
	ds_load_b128 v[4:7], v152 offset:14256
	scratch_load_b128 v[10:13], off, off offset:1472 th:TH_LOAD_LU ; 16-byte Folded Reload
	s_wait_loadcnt_dscnt 0x1
	v_mul_f64_e32 v[8:9], v[12:13], v[2:3]
	s_delay_alu instid0(VALU_DEP_1) | instskip(SKIP_1) | instid1(VALU_DEP_1)
	v_fma_f64 v[24:25], v[10:11], v[0:1], v[8:9]
	v_mul_f64_e32 v[0:1], v[12:13], v[0:1]
	v_fma_f64 v[40:41], v[10:11], v[2:3], -v[0:1]
	ds_load_b128 v[0:3], v152 offset:25920
	ds_load_b128 v[8:11], v152 offset:27216
	scratch_load_b128 v[14:17], off, off offset:1440 th:TH_LOAD_LU ; 16-byte Folded Reload
	s_wait_loadcnt_dscnt 0x1
	v_mul_f64_e32 v[12:13], v[16:17], v[2:3]
	s_delay_alu instid0(VALU_DEP_1) | instskip(SKIP_1) | instid1(VALU_DEP_2)
	v_fma_f64 v[42:43], v[14:15], v[0:1], v[12:13]
	v_mul_f64_e32 v[0:1], v[16:17], v[0:1]
	v_add_f64_e32 v[46:47], v[24:25], v[42:43]
	s_delay_alu instid0(VALU_DEP_2)
	v_fma_f64 v[44:45], v[14:15], v[2:3], -v[0:1]
	scratch_load_b128 v[12:15], off, off offset:1520 th:TH_LOAD_LU ; 16-byte Folded Reload
	v_add_f64_e32 v[48:49], v[40:41], v[44:45]
	v_add_f64_e64 v[50:51], v[40:41], -v[44:45]
	s_wait_loadcnt 0x0
	v_mul_f64_e32 v[0:1], v[14:15], v[6:7]
	s_delay_alu instid0(VALU_DEP_1)
	v_fma_f64 v[80:81], v[12:13], v[4:5], v[0:1]
	v_mul_f64_e32 v[0:1], v[14:15], v[4:5]
	scratch_load_b128 v[2:5], off, off offset:1536 th:TH_LOAD_LU ; 16-byte Folded Reload
	v_fma_f64 v[82:83], v[12:13], v[6:7], -v[0:1]
	s_wait_loadcnt_dscnt 0x0
	v_mul_f64_e32 v[0:1], v[4:5], v[10:11]
	s_delay_alu instid0(VALU_DEP_1) | instskip(SKIP_1) | instid1(VALU_DEP_1)
	v_fma_f64 v[84:85], v[2:3], v[8:9], v[0:1]
	v_mul_f64_e32 v[0:1], v[4:5], v[8:9]
	v_fma_f64 v[86:87], v[2:3], v[10:11], -v[0:1]
	ds_load_b128 v[0:3], v152 offset:15552
	ds_load_b128 v[4:7], v152 offset:16848
	scratch_load_b128 v[10:13], off, off offset:1488 th:TH_LOAD_LU ; 16-byte Folded Reload
	s_wait_loadcnt_dscnt 0x1
	v_mul_f64_e32 v[8:9], v[12:13], v[2:3]
	s_delay_alu instid0(VALU_DEP_1) | instskip(SKIP_1) | instid1(VALU_DEP_1)
	v_fma_f64 v[88:89], v[10:11], v[0:1], v[8:9]
	v_mul_f64_e32 v[0:1], v[12:13], v[0:1]
	v_fma_f64 v[90:91], v[10:11], v[2:3], -v[0:1]
	ds_load_b128 v[0:3], v152 offset:28512
	ds_load_b128 v[8:11], v152 offset:29808
	scratch_load_b128 v[14:17], off, off offset:1456 th:TH_LOAD_LU ; 16-byte Folded Reload
	s_wait_loadcnt_dscnt 0x1
	v_mul_f64_e32 v[12:13], v[16:17], v[2:3]
	s_delay_alu instid0(VALU_DEP_1) | instskip(SKIP_1) | instid1(VALU_DEP_1)
	v_fma_f64 v[92:93], v[14:15], v[0:1], v[12:13]
	v_mul_f64_e32 v[0:1], v[16:17], v[0:1]
	v_fma_f64 v[94:95], v[14:15], v[2:3], -v[0:1]
	scratch_load_b128 v[12:15], off, off offset:1568 th:TH_LOAD_LU ; 16-byte Folded Reload
	s_wait_loadcnt 0x0
	v_mul_f64_e32 v[0:1], v[14:15], v[6:7]
	s_delay_alu instid0(VALU_DEP_1)
	v_fma_f64 v[96:97], v[12:13], v[4:5], v[0:1]
	v_mul_f64_e32 v[0:1], v[14:15], v[4:5]
	scratch_load_b128 v[2:5], off, off offset:1600 th:TH_LOAD_LU ; 16-byte Folded Reload
	v_fma_f64 v[98:99], v[12:13], v[6:7], -v[0:1]
	s_wait_loadcnt_dscnt 0x0
	v_mul_f64_e32 v[0:1], v[4:5], v[10:11]
	s_delay_alu instid0(VALU_DEP_1) | instskip(SKIP_1) | instid1(VALU_DEP_1)
	v_fma_f64 v[100:101], v[2:3], v[8:9], v[0:1]
	v_mul_f64_e32 v[0:1], v[4:5], v[8:9]
	v_fma_f64 v[102:103], v[2:3], v[10:11], -v[0:1]
	ds_load_b128 v[0:3], v152 offset:18144
	ds_load_b128 v[4:7], v152 offset:19440
	scratch_load_b128 v[10:13], off, off offset:1552 th:TH_LOAD_LU ; 16-byte Folded Reload
	s_wait_loadcnt_dscnt 0x1
	v_mul_f64_e32 v[8:9], v[12:13], v[2:3]
	s_delay_alu instid0(VALU_DEP_1) | instskip(SKIP_1) | instid1(VALU_DEP_1)
	v_fma_f64 v[104:105], v[10:11], v[0:1], v[8:9]
	v_mul_f64_e32 v[0:1], v[12:13], v[0:1]
	v_fma_f64 v[106:107], v[10:11], v[2:3], -v[0:1]
	ds_load_b128 v[0:3], v152 offset:31104
	ds_load_b128 v[8:11], v152 offset:32400
	scratch_load_b128 v[14:17], off, off offset:1504 th:TH_LOAD_LU ; 16-byte Folded Reload
	s_wait_loadcnt_dscnt 0x1
	v_mul_f64_e32 v[12:13], v[16:17], v[2:3]
	s_delay_alu instid0(VALU_DEP_1) | instskip(SKIP_1) | instid1(VALU_DEP_1)
	v_fma_f64 v[108:109], v[14:15], v[0:1], v[12:13]
	v_mul_f64_e32 v[0:1], v[16:17], v[0:1]
	v_fma_f64 v[110:111], v[14:15], v[2:3], -v[0:1]
	v_mul_f64_e32 v[0:1], v[198:199], v[6:7]
	s_delay_alu instid0(VALU_DEP_1)
	v_fma_f64 v[28:29], v[196:197], v[4:5], v[0:1]
	v_mul_f64_e32 v[0:1], v[198:199], v[4:5]
	scratch_load_b128 v[2:5], off, off offset:1648 th:TH_LOAD_LU ; 16-byte Folded Reload
	v_fma_f64 v[112:113], v[196:197], v[6:7], -v[0:1]
	s_wait_loadcnt_dscnt 0x0
	v_mul_f64_e32 v[0:1], v[4:5], v[10:11]
	s_delay_alu instid0(VALU_DEP_1) | instskip(SKIP_1) | instid1(VALU_DEP_1)
	v_fma_f64 v[114:115], v[2:3], v[8:9], v[0:1]
	v_mul_f64_e32 v[0:1], v[4:5], v[8:9]
	v_fma_f64 v[116:117], v[2:3], v[10:11], -v[0:1]
	ds_load_b128 v[0:3], v152 offset:20736
	ds_load_b128 v[4:7], v152 offset:22032
	scratch_load_b128 v[10:13], off, off offset:1616 th:TH_LOAD_LU ; 16-byte Folded Reload
	s_wait_loadcnt_dscnt 0x1
	v_mul_f64_e32 v[8:9], v[12:13], v[2:3]
	s_delay_alu instid0(VALU_DEP_1) | instskip(SKIP_1) | instid1(VALU_DEP_1)
	v_fma_f64 v[30:31], v[10:11], v[0:1], v[8:9]
	v_mul_f64_e32 v[0:1], v[12:13], v[0:1]
	v_fma_f64 v[26:27], v[10:11], v[2:3], -v[0:1]
	ds_load_b128 v[0:3], v152 offset:33696
	ds_load_b128 v[8:11], v152 offset:34992
	scratch_load_b128 v[14:17], off, off offset:1584 th:TH_LOAD_LU ; 16-byte Folded Reload
	s_wait_loadcnt_dscnt 0x1
	v_mul_f64_e32 v[12:13], v[16:17], v[2:3]
	s_delay_alu instid0(VALU_DEP_1) | instskip(SKIP_1) | instid1(VALU_DEP_1)
	v_fma_f64 v[118:119], v[14:15], v[0:1], v[12:13]
	v_mul_f64_e32 v[0:1], v[16:17], v[0:1]
	v_fma_f64 v[120:121], v[14:15], v[2:3], -v[0:1]
	v_mul_f64_e32 v[0:1], v[183:184], v[6:7]
	s_delay_alu instid0(VALU_DEP_1) | instskip(SKIP_1) | instid1(VALU_DEP_1)
	v_fma_f64 v[12:13], v[181:182], v[4:5], v[0:1]
	v_mul_f64_e32 v[0:1], v[183:184], v[4:5]
	v_fma_f64 v[18:19], v[181:182], v[6:7], -v[0:1]
	s_wait_dscnt 0x0
	v_mul_f64_e32 v[0:1], v[194:195], v[10:11]
	s_delay_alu instid0(VALU_DEP_1) | instskip(SKIP_1) | instid1(VALU_DEP_1)
	v_fma_f64 v[16:17], v[192:193], v[8:9], v[0:1]
	v_mul_f64_e32 v[0:1], v[194:195], v[8:9]
	v_fma_f64 v[22:23], v[192:193], v[10:11], -v[0:1]
	ds_load_b128 v[0:3], v152 offset:23328
	ds_load_b128 v[4:7], v152 offset:24624
	s_wait_dscnt 0x1
	v_mul_f64_e32 v[8:9], v[202:203], v[2:3]
	s_delay_alu instid0(VALU_DEP_1) | instskip(SKIP_1) | instid1(VALU_DEP_1)
	v_fma_f64 v[8:9], v[200:201], v[0:1], v[8:9]
	v_mul_f64_e32 v[0:1], v[202:203], v[0:1]
	v_fma_f64 v[10:11], v[200:201], v[2:3], -v[0:1]
	ds_load_b128 v[0:3], v152 offset:36288
	ds_load_b128 v[32:35], v152 offset:37584
	scratch_load_b128 v[36:39], off, off offset:1632 th:TH_LOAD_LU ; 16-byte Folded Reload
	s_wait_loadcnt_dscnt 0x1
	v_mul_f64_e32 v[14:15], v[38:39], v[2:3]
	s_delay_alu instid0(VALU_DEP_1) | instskip(SKIP_1) | instid1(VALU_DEP_1)
	v_fma_f64 v[14:15], v[36:37], v[0:1], v[14:15]
	v_mul_f64_e32 v[0:1], v[38:39], v[0:1]
	v_fma_f64 v[20:21], v[36:37], v[2:3], -v[0:1]
	v_mul_f64_e32 v[0:1], v[175:176], v[6:7]
	v_mul_f64_e32 v[2:3], v[175:176], v[4:5]
	s_delay_alu instid0(VALU_DEP_2) | instskip(NEXT) | instid1(VALU_DEP_2)
	v_fma_f64 v[0:1], v[173:174], v[4:5], v[0:1]
	v_fma_f64 v[4:5], v[173:174], v[6:7], -v[2:3]
	s_wait_dscnt 0x0
	v_mul_f64_e32 v[2:3], v[179:180], v[34:35]
	v_mul_f64_e32 v[6:7], v[179:180], v[32:33]
	s_delay_alu instid0(VALU_DEP_2) | instskip(NEXT) | instid1(VALU_DEP_2)
	v_fma_f64 v[2:3], v[177:178], v[32:33], v[2:3]
	v_fma_f64 v[6:7], v[177:178], v[34:35], -v[6:7]
	ds_load_b128 v[32:35], v152
	ds_load_b128 v[36:39], v152 offset:1296
	s_wait_dscnt 0x1
	v_fma_f64 v[46:47], v[46:47], -0.5, v[32:33]
	v_fma_f64 v[48:49], v[48:49], -0.5, v[34:35]
	v_add_f64_e32 v[34:35], v[34:35], v[40:41]
	v_add_f64_e32 v[32:33], v[32:33], v[24:25]
	v_add_f64_e64 v[24:25], v[24:25], -v[42:43]
	v_fma_f64 v[40:41], v[50:51], s[12:13], v[46:47]
	s_delay_alu instid0(VALU_DEP_4) | instskip(NEXT) | instid1(VALU_DEP_4)
	v_add_f64_e32 v[34:35], v[34:35], v[44:45]
	v_add_f64_e32 v[32:33], v[32:33], v[42:43]
	v_fma_f64 v[44:45], v[50:51], s[2:3], v[46:47]
	v_fma_f64 v[42:43], v[24:25], s[2:3], v[48:49]
	;; [unrolled: 1-line block ×3, first 2 shown]
	ds_load_b128 v[48:51], v152 offset:2592
	ds_load_b128 v[52:55], v152 offset:3888
	;; [unrolled: 1-line block ×8, first 2 shown]
	global_wb scope:SCOPE_SE
	s_wait_dscnt 0x0
	s_barrier_signal -1
	s_barrier_wait -1
	global_inv scope:SCOPE_SE
	scratch_load_b32 v24, off, off offset:1436 th:TH_LOAD_LU ; 4-byte Folded Reload
	s_wait_loadcnt 0x0
	ds_store_b128 v24, v[32:35]
	ds_store_b128 v24, v[40:43] offset:480
	ds_store_b128 v24, v[44:47] offset:960
	v_add_f64_e32 v[24:25], v[80:81], v[84:85]
	v_add_f64_e32 v[32:33], v[82:83], v[86:87]
	v_add_f64_e64 v[44:45], v[80:81], -v[84:85]
	s_delay_alu instid0(VALU_DEP_3) | instskip(NEXT) | instid1(VALU_DEP_3)
	v_fma_f64 v[24:25], v[24:25], -0.5, v[36:37]
	v_fma_f64 v[42:43], v[32:33], -0.5, v[38:39]
	v_add_f64_e32 v[32:33], v[38:39], v[82:83]
	v_add_f64_e32 v[36:37], v[36:37], v[80:81]
	v_add_f64_e64 v[38:39], v[82:83], -v[86:87]
	s_delay_alu instid0(VALU_DEP_3) | instskip(NEXT) | instid1(VALU_DEP_3)
	v_add_f64_e32 v[34:35], v[32:33], v[86:87]
	v_add_f64_e32 v[32:33], v[36:37], v[84:85]
	s_delay_alu instid0(VALU_DEP_3)
	v_fma_f64 v[36:37], v[38:39], s[12:13], v[24:25]
	v_fma_f64 v[40:41], v[38:39], s[2:3], v[24:25]
	scratch_load_b32 v24, off, off offset:1432 th:TH_LOAD_LU ; 4-byte Folded Reload
	v_fma_f64 v[38:39], v[44:45], s[2:3], v[42:43]
	v_fma_f64 v[42:43], v[44:45], s[12:13], v[42:43]
	s_wait_loadcnt 0x0
	ds_store_b128 v24, v[32:35]
	ds_store_b128 v24, v[36:39] offset:480
	ds_store_b128 v24, v[40:43] offset:960
	v_add_f64_e32 v[24:25], v[88:89], v[92:93]
	v_add_f64_e32 v[32:33], v[90:91], v[94:95]
	v_add_f64_e32 v[36:37], v[48:49], v[88:89]
	v_add_f64_e64 v[38:39], v[90:91], -v[94:95]
	v_add_f64_e64 v[44:45], v[88:89], -v[92:93]
	v_fma_f64 v[24:25], v[24:25], -0.5, v[48:49]
	v_fma_f64 v[42:43], v[32:33], -0.5, v[50:51]
	v_add_f64_e32 v[32:33], v[50:51], v[90:91]
	s_delay_alu instid0(VALU_DEP_3) | instskip(NEXT) | instid1(VALU_DEP_2)
	v_fma_f64 v[40:41], v[38:39], s[2:3], v[24:25]
	v_add_f64_e32 v[34:35], v[32:33], v[94:95]
	v_add_f64_e32 v[32:33], v[36:37], v[92:93]
	v_fma_f64 v[36:37], v[38:39], s[12:13], v[24:25]
	scratch_load_b32 v24, off, off offset:1424 th:TH_LOAD_LU ; 4-byte Folded Reload
	v_fma_f64 v[38:39], v[44:45], s[2:3], v[42:43]
	v_fma_f64 v[42:43], v[44:45], s[12:13], v[42:43]
	s_wait_loadcnt 0x0
	ds_store_b128 v24, v[32:35]
	ds_store_b128 v24, v[36:39] offset:480
	ds_store_b128 v24, v[40:43] offset:960
	v_add_f64_e32 v[24:25], v[96:97], v[100:101]
	v_add_f64_e32 v[32:33], v[98:99], v[102:103]
	v_add_f64_e32 v[36:37], v[52:53], v[96:97]
	v_add_f64_e64 v[38:39], v[98:99], -v[102:103]
	v_add_f64_e64 v[44:45], v[96:97], -v[100:101]
	v_fma_f64 v[24:25], v[24:25], -0.5, v[52:53]
	v_fma_f64 v[42:43], v[32:33], -0.5, v[54:55]
	v_add_f64_e32 v[32:33], v[54:55], v[98:99]
	s_delay_alu instid0(VALU_DEP_3) | instskip(NEXT) | instid1(VALU_DEP_2)
	v_fma_f64 v[40:41], v[38:39], s[2:3], v[24:25]
	v_add_f64_e32 v[34:35], v[32:33], v[102:103]
	v_add_f64_e32 v[32:33], v[36:37], v[100:101]
	;; [unrolled: 20-line block ×4, first 2 shown]
	v_fma_f64 v[36:37], v[38:39], s[12:13], v[24:25]
	scratch_load_b32 v24, off, off offset:1412 th:TH_LOAD_LU ; 4-byte Folded Reload
	v_fma_f64 v[38:39], v[28:29], s[2:3], v[42:43]
	v_fma_f64 v[42:43], v[28:29], s[12:13], v[42:43]
	s_wait_loadcnt 0x0
	ds_store_b128 v24, v[32:35]
	ds_store_b128 v24, v[36:39] offset:480
	ds_store_b128 v24, v[40:43] offset:960
	v_add_f64_e32 v[24:25], v[30:31], v[118:119]
	v_add_f64_e32 v[28:29], v[64:65], v[30:31]
	v_add_f64_e64 v[36:37], v[26:27], -v[120:121]
	v_add_f64_e64 v[38:39], v[30:31], -v[118:119]
	s_delay_alu instid0(VALU_DEP_4) | instskip(SKIP_1) | instid1(VALU_DEP_1)
	v_fma_f64 v[32:33], v[24:25], -0.5, v[64:65]
	v_add_f64_e32 v[24:25], v[26:27], v[120:121]
	v_fma_f64 v[34:35], v[24:25], -0.5, v[66:67]
	v_add_f64_e32 v[24:25], v[66:67], v[26:27]
	s_delay_alu instid0(VALU_DEP_2) | instskip(NEXT) | instid1(VALU_DEP_2)
	v_fma_f64 v[30:31], v[38:39], s[2:3], v[34:35]
	v_add_f64_e32 v[26:27], v[24:25], v[120:121]
	v_add_f64_e32 v[24:25], v[28:29], v[118:119]
	v_fma_f64 v[28:29], v[36:37], s[12:13], v[32:33]
	v_fma_f64 v[32:33], v[36:37], s[2:3], v[32:33]
	scratch_load_b32 v36, off, off offset:1408 th:TH_LOAD_LU ; 4-byte Folded Reload
	v_fma_f64 v[34:35], v[38:39], s[12:13], v[34:35]
	s_wait_loadcnt 0x0
	ds_store_b128 v36, v[24:27]
	ds_store_b128 v36, v[28:31] offset:480
	ds_store_b128 v36, v[32:35] offset:960
	v_add_f64_e32 v[24:25], v[12:13], v[16:17]
	v_add_f64_e32 v[30:31], v[68:69], v[12:13]
	v_add_f64_e64 v[12:13], v[12:13], -v[16:17]
	s_delay_alu instid0(VALU_DEP_3) | instskip(SKIP_1) | instid1(VALU_DEP_1)
	v_fma_f64 v[26:27], v[24:25], -0.5, v[68:69]
	v_add_f64_e32 v[24:25], v[18:19], v[22:23]
	v_fma_f64 v[28:29], v[24:25], -0.5, v[70:71]
	v_add_f64_e32 v[24:25], v[70:71], v[18:19]
	v_add_f64_e64 v[18:19], v[18:19], -v[22:23]
	s_delay_alu instid0(VALU_DEP_2) | instskip(SKIP_1) | instid1(VALU_DEP_3)
	v_add_f64_e32 v[24:25], v[24:25], v[22:23]
	v_add_f64_e32 v[22:23], v[30:31], v[16:17]
	v_fma_f64 v[16:17], v[18:19], s[12:13], v[26:27]
	v_fma_f64 v[26:27], v[18:19], s[2:3], v[26:27]
	;; [unrolled: 1-line block ×4, first 2 shown]
	scratch_load_b32 v12, off, off offset:1404 th:TH_LOAD_LU ; 4-byte Folded Reload
	s_wait_loadcnt 0x0
	ds_store_b128 v12, v[22:25]
	ds_store_b128 v12, v[16:19] offset:480
	ds_store_b128 v12, v[26:29] offset:960
	v_add_f64_e32 v[12:13], v[8:9], v[14:15]
	v_add_f64_e32 v[18:19], v[72:73], v[8:9]
	v_add_f64_e64 v[24:25], v[10:11], -v[20:21]
	v_add_f64_e64 v[8:9], v[8:9], -v[14:15]
	s_delay_alu instid0(VALU_DEP_4) | instskip(SKIP_1) | instid1(VALU_DEP_1)
	v_fma_f64 v[16:17], v[12:13], -0.5, v[72:73]
	v_add_f64_e32 v[12:13], v[10:11], v[20:21]
	v_fma_f64 v[22:23], v[12:13], -0.5, v[74:75]
	v_add_f64_e32 v[12:13], v[74:75], v[10:11]
	v_add_f64_e32 v[10:11], v[18:19], v[14:15]
	v_fma_f64 v[14:15], v[24:25], s[12:13], v[16:17]
	v_fma_f64 v[18:19], v[24:25], s[2:3], v[16:17]
	;; [unrolled: 1-line block ×3, first 2 shown]
	v_add_f64_e32 v[12:13], v[12:13], v[20:21]
	v_fma_f64 v[20:21], v[8:9], s[12:13], v[22:23]
	scratch_load_b32 v8, off, off offset:1400 th:TH_LOAD_LU ; 4-byte Folded Reload
	s_wait_loadcnt 0x0
	ds_store_b128 v8, v[10:13]
	ds_store_b128 v8, v[14:17] offset:480
	ds_store_b128 v8, v[18:21] offset:960
	v_add_f64_e32 v[10:11], v[4:5], v[6:7]
	v_add_f64_e32 v[12:13], v[78:79], v[4:5]
	;; [unrolled: 1-line block ×3, first 2 shown]
	v_add_f64_e64 v[16:17], v[4:5], -v[6:7]
	v_add_f64_e32 v[8:9], v[0:1], v[2:3]
	v_fma_f64 v[10:11], v[10:11], -0.5, v[78:79]
	v_add_f64_e32 v[6:7], v[12:13], v[6:7]
	v_add_f64_e64 v[12:13], v[0:1], -v[2:3]
	v_add_f64_e32 v[4:5], v[14:15], v[2:3]
	v_fma_f64 v[8:9], v[8:9], -0.5, v[76:77]
	s_delay_alu instid0(VALU_DEP_3)
	v_fma_f64 v[2:3], v[12:13], s[2:3], v[10:11]
	v_fma_f64 v[10:11], v[12:13], s[12:13], v[10:11]
	scratch_load_b32 v12, off, off offset:1396 th:TH_LOAD_LU ; 4-byte Folded Reload
	v_fma_f64 v[0:1], v[16:17], s[12:13], v[8:9]
	v_fma_f64 v[8:9], v[16:17], s[2:3], v[8:9]
	s_wait_loadcnt 0x0
	ds_store_b128 v12, v[4:7]
	ds_store_b128 v12, v[0:3] offset:480
	ds_store_b128 v12, v[8:11] offset:960
	global_wb scope:SCOPE_SE
	s_wait_dscnt 0x0
	s_barrier_signal -1
	s_barrier_wait -1
	global_inv scope:SCOPE_SE
	ds_load_b128 v[0:3], v152 offset:12960
	ds_load_b128 v[4:7], v152 offset:14256
	scratch_load_b128 v[10:13], off, off offset:1280 th:TH_LOAD_LU ; 16-byte Folded Reload
	s_wait_loadcnt_dscnt 0x1
	v_mul_f64_e32 v[8:9], v[12:13], v[2:3]
	s_delay_alu instid0(VALU_DEP_1) | instskip(SKIP_1) | instid1(VALU_DEP_1)
	v_fma_f64 v[35:36], v[10:11], v[0:1], v[8:9]
	v_mul_f64_e32 v[0:1], v[12:13], v[0:1]
	v_fma_f64 v[37:38], v[10:11], v[2:3], -v[0:1]
	ds_load_b128 v[0:3], v152 offset:25920
	ds_load_b128 v[8:11], v152 offset:27216
	scratch_load_b128 v[14:17], off, off offset:1248 th:TH_LOAD_LU ; 16-byte Folded Reload
	s_wait_loadcnt_dscnt 0x1
	v_mul_f64_e32 v[12:13], v[16:17], v[2:3]
	s_delay_alu instid0(VALU_DEP_1) | instskip(SKIP_1) | instid1(VALU_DEP_2)
	v_fma_f64 v[39:40], v[14:15], v[0:1], v[12:13]
	v_mul_f64_e32 v[0:1], v[16:17], v[0:1]
	v_add_f64_e32 v[51:52], v[35:36], v[39:40]
	s_delay_alu instid0(VALU_DEP_2) | instskip(SKIP_4) | instid1(VALU_DEP_1)
	v_fma_f64 v[41:42], v[14:15], v[2:3], -v[0:1]
	scratch_load_b128 v[12:15], off, off offset:1328 th:TH_LOAD_LU ; 16-byte Folded Reload
	v_add_f64_e32 v[53:54], v[37:38], v[41:42]
	s_wait_loadcnt 0x0
	v_mul_f64_e32 v[0:1], v[14:15], v[6:7]
	v_fma_f64 v[43:44], v[12:13], v[4:5], v[0:1]
	v_mul_f64_e32 v[0:1], v[14:15], v[4:5]
	scratch_load_b128 v[2:5], off, off offset:1344 th:TH_LOAD_LU ; 16-byte Folded Reload
	v_fma_f64 v[45:46], v[12:13], v[6:7], -v[0:1]
	s_wait_loadcnt_dscnt 0x0
	v_mul_f64_e32 v[0:1], v[4:5], v[10:11]
	s_delay_alu instid0(VALU_DEP_1) | instskip(SKIP_1) | instid1(VALU_DEP_1)
	v_fma_f64 v[47:48], v[2:3], v[8:9], v[0:1]
	v_mul_f64_e32 v[0:1], v[4:5], v[8:9]
	v_fma_f64 v[49:50], v[2:3], v[10:11], -v[0:1]
	ds_load_b128 v[0:3], v152 offset:15552
	ds_load_b128 v[4:7], v152 offset:16848
	scratch_load_b128 v[10:13], off, off offset:1296 th:TH_LOAD_LU ; 16-byte Folded Reload
	s_wait_loadcnt_dscnt 0x1
	v_mul_f64_e32 v[8:9], v[12:13], v[2:3]
	s_delay_alu instid0(VALU_DEP_1) | instskip(SKIP_1) | instid1(VALU_DEP_1)
	v_fma_f64 v[83:84], v[10:11], v[0:1], v[8:9]
	v_mul_f64_e32 v[0:1], v[12:13], v[0:1]
	v_fma_f64 v[85:86], v[10:11], v[2:3], -v[0:1]
	ds_load_b128 v[0:3], v152 offset:28512
	ds_load_b128 v[8:11], v152 offset:29808
	scratch_load_b128 v[14:17], off, off offset:1264 th:TH_LOAD_LU ; 16-byte Folded Reload
	s_wait_loadcnt_dscnt 0x1
	v_mul_f64_e32 v[12:13], v[16:17], v[2:3]
	s_delay_alu instid0(VALU_DEP_1) | instskip(SKIP_1) | instid1(VALU_DEP_1)
	v_fma_f64 v[87:88], v[14:15], v[0:1], v[12:13]
	v_mul_f64_e32 v[0:1], v[16:17], v[0:1]
	v_fma_f64 v[89:90], v[14:15], v[2:3], -v[0:1]
	v_mul_f64_e32 v[0:1], v[242:243], v[6:7]
	s_delay_alu instid0(VALU_DEP_1)
	v_fma_f64 v[91:92], v[240:241], v[4:5], v[0:1]
	v_mul_f64_e32 v[0:1], v[242:243], v[4:5]
	scratch_load_b128 v[2:5], off, off offset:1376 th:TH_LOAD_LU ; 16-byte Folded Reload
	v_fma_f64 v[93:94], v[240:241], v[6:7], -v[0:1]
	s_wait_loadcnt_dscnt 0x0
	v_mul_f64_e32 v[0:1], v[4:5], v[10:11]
	s_delay_alu instid0(VALU_DEP_1) | instskip(SKIP_1) | instid1(VALU_DEP_1)
	v_fma_f64 v[95:96], v[2:3], v[8:9], v[0:1]
	v_mul_f64_e32 v[0:1], v[4:5], v[8:9]
	v_fma_f64 v[97:98], v[2:3], v[10:11], -v[0:1]
	ds_load_b128 v[0:3], v152 offset:18144
	ds_load_b128 v[4:7], v152 offset:19440
	s_wait_dscnt 0x1
	v_mul_f64_e32 v[8:9], v[250:251], v[2:3]
	s_delay_alu instid0(VALU_DEP_1) | instskip(SKIP_1) | instid1(VALU_DEP_1)
	v_fma_f64 v[99:100], v[248:249], v[0:1], v[8:9]
	v_mul_f64_e32 v[0:1], v[250:251], v[0:1]
	v_fma_f64 v[101:102], v[248:249], v[2:3], -v[0:1]
	ds_load_b128 v[0:3], v152 offset:31104
	ds_load_b128 v[8:11], v152 offset:32400
	scratch_load_b128 v[14:17], off, off offset:1312 th:TH_LOAD_LU ; 16-byte Folded Reload
	s_wait_loadcnt_dscnt 0x1
	v_mul_f64_e32 v[12:13], v[16:17], v[2:3]
	s_delay_alu instid0(VALU_DEP_1) | instskip(SKIP_1) | instid1(VALU_DEP_1)
	v_fma_f64 v[103:104], v[14:15], v[0:1], v[12:13]
	v_mul_f64_e32 v[0:1], v[16:17], v[0:1]
	v_fma_f64 v[105:106], v[14:15], v[2:3], -v[0:1]
	v_mul_f64_e32 v[0:1], v[230:231], v[6:7]
	s_delay_alu instid0(VALU_DEP_1) | instskip(SKIP_1) | instid1(VALU_DEP_1)
	v_fma_f64 v[107:108], v[228:229], v[4:5], v[0:1]
	v_mul_f64_e32 v[0:1], v[230:231], v[4:5]
	v_fma_f64 v[109:110], v[228:229], v[6:7], -v[0:1]
	s_wait_dscnt 0x0
	v_mul_f64_e32 v[0:1], v[234:235], v[10:11]
	s_delay_alu instid0(VALU_DEP_1) | instskip(SKIP_1) | instid1(VALU_DEP_1)
	v_fma_f64 v[111:112], v[232:233], v[8:9], v[0:1]
	v_mul_f64_e32 v[0:1], v[234:235], v[8:9]
	v_fma_f64 v[113:114], v[232:233], v[10:11], -v[0:1]
	ds_load_b128 v[0:3], v152 offset:20736
	ds_load_b128 v[4:7], v152 offset:22032
	s_wait_dscnt 0x1
	v_mul_f64_e32 v[8:9], v[238:239], v[2:3]
	s_delay_alu instid0(VALU_DEP_1) | instskip(SKIP_1) | instid1(VALU_DEP_1)
	v_fma_f64 v[25:26], v[236:237], v[0:1], v[8:9]
	v_mul_f64_e32 v[0:1], v[238:239], v[0:1]
	v_fma_f64 v[115:116], v[236:237], v[2:3], -v[0:1]
	ds_load_b128 v[0:3], v152 offset:33696
	ds_load_b128 v[8:11], v152 offset:34992
	scratch_load_b128 v[14:17], off, off offset:1360 th:TH_LOAD_LU ; 16-byte Folded Reload
	s_wait_loadcnt_dscnt 0x1
	v_mul_f64_e32 v[12:13], v[16:17], v[2:3]
	s_delay_alu instid0(VALU_DEP_1) | instskip(SKIP_1) | instid1(VALU_DEP_1)
	v_fma_f64 v[117:118], v[14:15], v[0:1], v[12:13]
	v_mul_f64_e32 v[0:1], v[16:17], v[0:1]
	v_fma_f64 v[119:120], v[14:15], v[2:3], -v[0:1]
	v_mul_f64_e32 v[0:1], v[215:216], v[6:7]
	s_delay_alu instid0(VALU_DEP_1) | instskip(SKIP_1) | instid1(VALU_DEP_1)
	v_fma_f64 v[12:13], v[213:214], v[4:5], v[0:1]
	v_mul_f64_e32 v[0:1], v[215:216], v[4:5]
	v_fma_f64 v[18:19], v[213:214], v[6:7], -v[0:1]
	s_wait_dscnt 0x0
	v_mul_f64_e32 v[0:1], v[226:227], v[10:11]
	s_delay_alu instid0(VALU_DEP_1) | instskip(SKIP_1) | instid1(VALU_DEP_1)
	v_fma_f64 v[16:17], v[224:225], v[8:9], v[0:1]
	v_mul_f64_e32 v[0:1], v[226:227], v[8:9]
	v_fma_f64 v[22:23], v[224:225], v[10:11], -v[0:1]
	ds_load_b128 v[0:3], v152 offset:23328
	ds_load_b128 v[4:7], v152 offset:24624
	s_wait_dscnt 0x1
	v_mul_f64_e32 v[8:9], v[222:223], v[2:3]
	s_delay_alu instid0(VALU_DEP_1) | instskip(SKIP_1) | instid1(VALU_DEP_1)
	v_fma_f64 v[8:9], v[220:221], v[0:1], v[8:9]
	v_mul_f64_e32 v[0:1], v[222:223], v[0:1]
	v_fma_f64 v[10:11], v[220:221], v[2:3], -v[0:1]
	ds_load_b128 v[0:3], v152 offset:36288
	ds_load_b128 v[27:30], v152 offset:37584
	s_wait_dscnt 0x1
	v_mul_f64_e32 v[14:15], v[246:247], v[2:3]
	s_delay_alu instid0(VALU_DEP_1) | instskip(SKIP_1) | instid1(VALU_DEP_1)
	v_fma_f64 v[14:15], v[244:245], v[0:1], v[14:15]
	v_mul_f64_e32 v[0:1], v[246:247], v[0:1]
	v_fma_f64 v[20:21], v[244:245], v[2:3], -v[0:1]
	v_mul_f64_e32 v[0:1], v[207:208], v[6:7]
	v_mul_f64_e32 v[2:3], v[207:208], v[4:5]
	s_delay_alu instid0(VALU_DEP_2) | instskip(NEXT) | instid1(VALU_DEP_2)
	v_fma_f64 v[0:1], v[205:206], v[4:5], v[0:1]
	v_fma_f64 v[4:5], v[205:206], v[6:7], -v[2:3]
	s_wait_dscnt 0x0
	v_mul_f64_e32 v[2:3], v[211:212], v[29:30]
	v_mul_f64_e32 v[6:7], v[211:212], v[27:28]
	s_delay_alu instid0(VALU_DEP_2) | instskip(NEXT) | instid1(VALU_DEP_2)
	v_fma_f64 v[2:3], v[209:210], v[27:28], v[2:3]
	v_fma_f64 v[6:7], v[209:210], v[29:30], -v[6:7]
	ds_load_b128 v[27:30], v152
	ds_load_b128 v[31:34], v152 offset:1296
	s_wait_dscnt 0x1
	v_fma_f64 v[53:54], v[53:54], -0.5, v[29:30]
	v_add_f64_e32 v[29:30], v[29:30], v[37:38]
	v_fma_f64 v[51:52], v[51:52], -0.5, v[27:28]
	v_add_f64_e32 v[27:28], v[27:28], v[35:36]
	v_add_f64_e64 v[37:38], v[37:38], -v[41:42]
	s_delay_alu instid0(VALU_DEP_4) | instskip(SKIP_1) | instid1(VALU_DEP_4)
	v_add_f64_e32 v[29:30], v[29:30], v[41:42]
	v_add_f64_e64 v[41:42], v[35:36], -v[39:40]
	v_add_f64_e32 v[27:28], v[27:28], v[39:40]
	s_delay_alu instid0(VALU_DEP_4)
	v_fma_f64 v[35:36], v[37:38], s[12:13], v[51:52]
	v_fma_f64 v[39:40], v[37:38], s[2:3], v[51:52]
	v_add_f64_e32 v[51:52], v[43:44], v[47:48]
	v_fma_f64 v[37:38], v[41:42], s[2:3], v[53:54]
	v_fma_f64 v[41:42], v[41:42], s[12:13], v[53:54]
	v_add_f64_e32 v[53:54], v[45:46], v[49:50]
	s_wait_dscnt 0x0
	s_delay_alu instid0(VALU_DEP_4) | instskip(SKIP_1) | instid1(VALU_DEP_3)
	v_fma_f64 v[51:52], v[51:52], -0.5, v[31:32]
	v_add_f64_e32 v[31:32], v[31:32], v[43:44]
	v_fma_f64 v[53:54], v[53:54], -0.5, v[33:34]
	v_add_f64_e32 v[33:34], v[33:34], v[45:46]
	v_add_f64_e64 v[45:46], v[45:46], -v[49:50]
	s_delay_alu instid0(VALU_DEP_4) | instskip(NEXT) | instid1(VALU_DEP_3)
	v_add_f64_e32 v[31:32], v[31:32], v[47:48]
	v_add_f64_e32 v[33:34], v[33:34], v[49:50]
	v_add_f64_e64 v[49:50], v[43:44], -v[47:48]
	s_delay_alu instid0(VALU_DEP_4) | instskip(SKIP_1) | instid1(VALU_DEP_3)
	v_fma_f64 v[43:44], v[45:46], s[12:13], v[51:52]
	v_fma_f64 v[47:48], v[45:46], s[2:3], v[51:52]
	;; [unrolled: 1-line block ×4, first 2 shown]
	ds_load_b128 v[51:54], v152 offset:2592
	ds_load_b128 v[55:58], v152 offset:3888
	;; [unrolled: 1-line block ×8, first 2 shown]
	global_wb scope:SCOPE_SE
	s_wait_dscnt 0x0
	s_barrier_signal -1
	s_barrier_wait -1
	global_inv scope:SCOPE_SE
	ds_store_b128 v152, v[27:30]
	ds_store_b128 v152, v[35:38] offset:1440
	ds_store_b128 v152, v[39:42] offset:2880
	scratch_load_b32 v24, off, off offset:1148 th:TH_LOAD_LU ; 4-byte Folded Reload
	s_wait_loadcnt 0x0
	ds_store_b128 v24, v[31:34]
	ds_store_b128 v24, v[43:46] offset:1440
	ds_store_b128 v24, v[47:50] offset:2880
	scratch_load_b32 v24, off, off offset:1144 th:TH_LOAD_LU ; 4-byte Folded Reload
	v_add_f64_e32 v[27:28], v[83:84], v[87:88]
	v_add_f64_e32 v[31:32], v[51:52], v[83:84]
	v_add_f64_e64 v[35:36], v[85:86], -v[89:90]
	v_add_f64_e64 v[39:40], v[83:84], -v[87:88]
	s_delay_alu instid0(VALU_DEP_4) | instskip(SKIP_1) | instid1(VALU_DEP_1)
	v_fma_f64 v[33:34], v[27:28], -0.5, v[51:52]
	v_add_f64_e32 v[27:28], v[85:86], v[89:90]
	v_fma_f64 v[37:38], v[27:28], -0.5, v[53:54]
	v_add_f64_e32 v[27:28], v[53:54], v[85:86]
	s_delay_alu instid0(VALU_DEP_1)
	v_add_f64_e32 v[29:30], v[27:28], v[89:90]
	v_add_f64_e32 v[27:28], v[31:32], v[87:88]
	v_fma_f64 v[31:32], v[35:36], s[12:13], v[33:34]
	v_fma_f64 v[35:36], v[35:36], s[2:3], v[33:34]
	v_fma_f64 v[33:34], v[39:40], s[2:3], v[37:38]
	v_fma_f64 v[37:38], v[39:40], s[12:13], v[37:38]
	s_wait_loadcnt 0x0
	ds_store_b128 v24, v[27:30]
	ds_store_b128 v24, v[31:34] offset:1440
	ds_store_b128 v24, v[35:38] offset:2880
	scratch_load_b32 v24, off, off offset:1140 th:TH_LOAD_LU ; 4-byte Folded Reload
	v_add_f64_e32 v[27:28], v[91:92], v[95:96]
	v_add_f64_e32 v[31:32], v[55:56], v[91:92]
	v_add_f64_e64 v[35:36], v[93:94], -v[97:98]
	v_add_f64_e64 v[39:40], v[91:92], -v[95:96]
	s_delay_alu instid0(VALU_DEP_4) | instskip(SKIP_1) | instid1(VALU_DEP_1)
	v_fma_f64 v[33:34], v[27:28], -0.5, v[55:56]
	v_add_f64_e32 v[27:28], v[93:94], v[97:98]
	v_fma_f64 v[37:38], v[27:28], -0.5, v[57:58]
	v_add_f64_e32 v[27:28], v[57:58], v[93:94]
	s_delay_alu instid0(VALU_DEP_1)
	v_add_f64_e32 v[29:30], v[27:28], v[97:98]
	v_add_f64_e32 v[27:28], v[31:32], v[95:96]
	v_fma_f64 v[31:32], v[35:36], s[12:13], v[33:34]
	v_fma_f64 v[35:36], v[35:36], s[2:3], v[33:34]
	v_fma_f64 v[33:34], v[39:40], s[2:3], v[37:38]
	v_fma_f64 v[37:38], v[39:40], s[12:13], v[37:38]
	;; [unrolled: 21-line block ×3, first 2 shown]
	s_wait_loadcnt 0x0
	ds_store_b128 v24, v[27:30]
	ds_store_b128 v24, v[31:34] offset:1440
	ds_store_b128 v24, v[35:38] offset:2880
	v_add_f64_e32 v[27:28], v[107:108], v[111:112]
	v_add_f64_e32 v[31:32], v[63:64], v[107:108]
	v_add_f64_e64 v[35:36], v[109:110], -v[113:114]
	v_add_f64_e64 v[39:40], v[107:108], -v[111:112]
	s_delay_alu instid0(VALU_DEP_4) | instskip(SKIP_1) | instid1(VALU_DEP_1)
	v_fma_f64 v[33:34], v[27:28], -0.5, v[63:64]
	v_add_f64_e32 v[27:28], v[109:110], v[113:114]
	v_fma_f64 v[37:38], v[27:28], -0.5, v[65:66]
	v_add_f64_e32 v[27:28], v[65:66], v[109:110]
	s_delay_alu instid0(VALU_DEP_1)
	v_add_f64_e32 v[29:30], v[27:28], v[113:114]
	v_add_f64_e32 v[27:28], v[31:32], v[111:112]
	v_fma_f64 v[31:32], v[35:36], s[12:13], v[33:34]
	v_fma_f64 v[35:36], v[35:36], s[2:3], v[33:34]
	;; [unrolled: 1-line block ×4, first 2 shown]
	ds_store_b128 v189, v[27:30]
	ds_store_b128 v189, v[31:34] offset:1440
	ds_store_b128 v189, v[35:38] offset:2880
	v_add_f64_e32 v[27:28], v[25:26], v[117:118]
	v_add_f64_e32 v[31:32], v[67:68], v[25:26]
	v_add_f64_e64 v[35:36], v[115:116], -v[119:120]
	v_add_f64_e64 v[24:25], v[25:26], -v[117:118]
	s_delay_alu instid0(VALU_DEP_4) | instskip(SKIP_1) | instid1(VALU_DEP_1)
	v_fma_f64 v[33:34], v[27:28], -0.5, v[67:68]
	v_add_f64_e32 v[27:28], v[115:116], v[119:120]
	v_fma_f64 v[37:38], v[27:28], -0.5, v[69:70]
	v_add_f64_e32 v[27:28], v[69:70], v[115:116]
	s_delay_alu instid0(VALU_DEP_1)
	v_add_f64_e32 v[29:30], v[27:28], v[119:120]
	v_add_f64_e32 v[27:28], v[31:32], v[117:118]
	v_fma_f64 v[31:32], v[35:36], s[12:13], v[33:34]
	v_fma_f64 v[35:36], v[35:36], s[2:3], v[33:34]
	;; [unrolled: 1-line block ×4, first 2 shown]
	v_add_f64_e32 v[24:25], v[12:13], v[16:17]
	ds_store_b128 v219, v[27:30]
	ds_store_b128 v219, v[31:34] offset:1440
	ds_store_b128 v219, v[35:38] offset:2880
	v_add_f64_e32 v[30:31], v[71:72], v[12:13]
	v_add_f64_e64 v[12:13], v[12:13], -v[16:17]
	v_fma_f64 v[26:27], v[24:25], -0.5, v[71:72]
	v_add_f64_e32 v[24:25], v[18:19], v[22:23]
	s_delay_alu instid0(VALU_DEP_1) | instskip(SKIP_2) | instid1(VALU_DEP_2)
	v_fma_f64 v[28:29], v[24:25], -0.5, v[73:74]
	v_add_f64_e32 v[24:25], v[73:74], v[18:19]
	v_add_f64_e64 v[18:19], v[18:19], -v[22:23]
	v_add_f64_e32 v[24:25], v[24:25], v[22:23]
	v_add_f64_e32 v[22:23], v[30:31], v[16:17]
	s_delay_alu instid0(VALU_DEP_3)
	v_fma_f64 v[16:17], v[18:19], s[12:13], v[26:27]
	v_fma_f64 v[26:27], v[18:19], s[2:3], v[26:27]
	;; [unrolled: 1-line block ×4, first 2 shown]
	v_add_f64_e32 v[12:13], v[8:9], v[14:15]
	ds_store_b128 v218, v[22:25]
	ds_store_b128 v218, v[16:19] offset:1440
	ds_store_b128 v218, v[26:29] offset:2880
	v_add_f64_e32 v[18:19], v[75:76], v[8:9]
	v_add_f64_e64 v[24:25], v[10:11], -v[20:21]
	v_fma_f64 v[16:17], v[12:13], -0.5, v[75:76]
	v_add_f64_e32 v[12:13], v[10:11], v[20:21]
	v_add_f64_e64 v[8:9], v[8:9], -v[14:15]
	s_delay_alu instid0(VALU_DEP_2)
	v_fma_f64 v[22:23], v[12:13], -0.5, v[77:78]
	v_add_f64_e32 v[12:13], v[77:78], v[10:11]
	v_add_f64_e32 v[10:11], v[18:19], v[14:15]
	v_fma_f64 v[14:15], v[24:25], s[12:13], v[16:17]
	v_fma_f64 v[18:19], v[24:25], s[2:3], v[16:17]
	;; [unrolled: 1-line block ×3, first 2 shown]
	v_add_f64_e32 v[12:13], v[12:13], v[20:21]
	v_fma_f64 v[20:21], v[8:9], s[12:13], v[22:23]
	ds_store_b128 v217, v[10:13]
	ds_store_b128 v217, v[14:17] offset:1440
	ds_store_b128 v217, v[18:21] offset:2880
	v_add_f64_e32 v[8:9], v[0:1], v[2:3]
	v_add_f64_e32 v[10:11], v[4:5], v[6:7]
	;; [unrolled: 1-line block ×4, first 2 shown]
	v_add_f64_e64 v[16:17], v[4:5], -v[6:7]
	v_fma_f64 v[8:9], v[8:9], -0.5, v[79:80]
	v_fma_f64 v[10:11], v[10:11], -0.5, v[81:82]
	v_add_f64_e32 v[6:7], v[12:13], v[6:7]
	v_add_f64_e64 v[12:13], v[0:1], -v[2:3]
	v_add_f64_e32 v[4:5], v[14:15], v[2:3]
	v_fma_f64 v[0:1], v[16:17], s[12:13], v[8:9]
	v_fma_f64 v[8:9], v[16:17], s[2:3], v[8:9]
	s_delay_alu instid0(VALU_DEP_4)
	v_fma_f64 v[2:3], v[12:13], s[2:3], v[10:11]
	v_fma_f64 v[10:11], v[12:13], s[12:13], v[10:11]
	ds_store_b128 v191, v[4:7] offset:34560
	ds_store_b128 v191, v[0:3] offset:36000
	;; [unrolled: 1-line block ×3, first 2 shown]
	global_wb scope:SCOPE_SE
	s_wait_dscnt 0x0
	s_barrier_signal -1
	s_barrier_wait -1
	global_inv scope:SCOPE_SE
	ds_load_b128 v[0:3], v152 offset:12960
	ds_load_b128 v[4:7], v152 offset:14256
	scratch_load_b128 v[10:13], off, off offset:668 th:TH_LOAD_LU ; 16-byte Folded Reload
	s_wait_loadcnt_dscnt 0x1
	v_mul_f64_e32 v[8:9], v[12:13], v[2:3]
	s_delay_alu instid0(VALU_DEP_1) | instskip(SKIP_1) | instid1(VALU_DEP_1)
	v_fma_f64 v[32:33], v[10:11], v[0:1], v[8:9]
	v_mul_f64_e32 v[0:1], v[12:13], v[0:1]
	v_fma_f64 v[34:35], v[10:11], v[2:3], -v[0:1]
	ds_load_b128 v[0:3], v152 offset:25920
	ds_load_b128 v[8:11], v152 offset:27216
	scratch_load_b128 v[14:17], off, off offset:620 th:TH_LOAD_LU ; 16-byte Folded Reload
	s_wait_loadcnt_dscnt 0x1
	v_mul_f64_e32 v[12:13], v[16:17], v[2:3]
	s_delay_alu instid0(VALU_DEP_1) | instskip(SKIP_1) | instid1(VALU_DEP_2)
	v_fma_f64 v[36:37], v[14:15], v[0:1], v[12:13]
	v_mul_f64_e32 v[0:1], v[16:17], v[0:1]
	v_add_f64_e32 v[48:49], v[32:33], v[36:37]
	s_delay_alu instid0(VALU_DEP_2) | instskip(SKIP_4) | instid1(VALU_DEP_1)
	v_fma_f64 v[38:39], v[14:15], v[2:3], -v[0:1]
	scratch_load_b128 v[12:15], off, off offset:636 th:TH_LOAD_LU ; 16-byte Folded Reload
	v_add_f64_e32 v[50:51], v[34:35], v[38:39]
	s_wait_loadcnt 0x0
	v_mul_f64_e32 v[0:1], v[14:15], v[6:7]
	v_fma_f64 v[40:41], v[12:13], v[4:5], v[0:1]
	v_mul_f64_e32 v[0:1], v[14:15], v[4:5]
	scratch_load_b128 v[2:5], off, off offset:652 th:TH_LOAD_LU ; 16-byte Folded Reload
	v_fma_f64 v[42:43], v[12:13], v[6:7], -v[0:1]
	s_wait_loadcnt_dscnt 0x0
	v_mul_f64_e32 v[0:1], v[4:5], v[10:11]
	s_delay_alu instid0(VALU_DEP_1) | instskip(SKIP_1) | instid1(VALU_DEP_1)
	v_fma_f64 v[44:45], v[2:3], v[8:9], v[0:1]
	v_mul_f64_e32 v[0:1], v[4:5], v[8:9]
	v_fma_f64 v[46:47], v[2:3], v[10:11], -v[0:1]
	ds_load_b128 v[0:3], v152 offset:15552
	ds_load_b128 v[4:7], v152 offset:16848
	scratch_load_b128 v[10:13], off, off offset:684 th:TH_LOAD_LU ; 16-byte Folded Reload
	s_wait_loadcnt_dscnt 0x1
	v_mul_f64_e32 v[8:9], v[12:13], v[2:3]
	s_delay_alu instid0(VALU_DEP_1) | instskip(SKIP_1) | instid1(VALU_DEP_1)
	v_fma_f64 v[56:57], v[10:11], v[0:1], v[8:9]
	v_mul_f64_e32 v[0:1], v[12:13], v[0:1]
	v_fma_f64 v[58:59], v[10:11], v[2:3], -v[0:1]
	ds_load_b128 v[0:3], v152 offset:28512
	ds_load_b128 v[8:11], v152 offset:29808
	scratch_load_b128 v[14:17], off, off offset:700 th:TH_LOAD_LU ; 16-byte Folded Reload
	s_wait_loadcnt_dscnt 0x1
	v_mul_f64_e32 v[12:13], v[16:17], v[2:3]
	s_delay_alu instid0(VALU_DEP_1) | instskip(SKIP_1) | instid1(VALU_DEP_2)
	v_fma_f64 v[60:61], v[14:15], v[0:1], v[12:13]
	v_mul_f64_e32 v[0:1], v[16:17], v[0:1]
	v_add_f64_e32 v[72:73], v[56:57], v[60:61]
	s_delay_alu instid0(VALU_DEP_2) | instskip(SKIP_4) | instid1(VALU_DEP_1)
	v_fma_f64 v[62:63], v[14:15], v[2:3], -v[0:1]
	scratch_load_b128 v[12:15], off, off offset:732 th:TH_LOAD_LU ; 16-byte Folded Reload
	v_add_f64_e32 v[74:75], v[58:59], v[62:63]
	s_wait_loadcnt 0x0
	v_mul_f64_e32 v[0:1], v[14:15], v[6:7]
	v_fma_f64 v[64:65], v[12:13], v[4:5], v[0:1]
	v_mul_f64_e32 v[0:1], v[14:15], v[4:5]
	scratch_load_b128 v[2:5], off, off offset:716 th:TH_LOAD_LU ; 16-byte Folded Reload
	v_fma_f64 v[66:67], v[12:13], v[6:7], -v[0:1]
	s_wait_loadcnt_dscnt 0x0
	v_mul_f64_e32 v[0:1], v[4:5], v[10:11]
	s_delay_alu instid0(VALU_DEP_1) | instskip(SKIP_1) | instid1(VALU_DEP_1)
	v_fma_f64 v[68:69], v[2:3], v[8:9], v[0:1]
	v_mul_f64_e32 v[0:1], v[4:5], v[8:9]
	v_fma_f64 v[70:71], v[2:3], v[10:11], -v[0:1]
	ds_load_b128 v[0:3], v152 offset:18144
	ds_load_b128 v[4:7], v152 offset:19440
	scratch_load_b128 v[10:13], off, off offset:748 th:TH_LOAD_LU ; 16-byte Folded Reload
	s_wait_loadcnt_dscnt 0x1
	v_mul_f64_e32 v[8:9], v[12:13], v[2:3]
	s_delay_alu instid0(VALU_DEP_1) | instskip(SKIP_1) | instid1(VALU_DEP_1)
	v_fma_f64 v[96:97], v[10:11], v[0:1], v[8:9]
	v_mul_f64_e32 v[0:1], v[12:13], v[0:1]
	v_fma_f64 v[98:99], v[10:11], v[2:3], -v[0:1]
	ds_load_b128 v[0:3], v152 offset:31104
	ds_load_b128 v[8:11], v152 offset:32400
	scratch_load_b128 v[14:17], off, off offset:764 th:TH_LOAD_LU ; 16-byte Folded Reload
	s_wait_loadcnt_dscnt 0x1
	v_mul_f64_e32 v[12:13], v[16:17], v[2:3]
	s_delay_alu instid0(VALU_DEP_1) | instskip(SKIP_1) | instid1(VALU_DEP_1)
	v_fma_f64 v[100:101], v[14:15], v[0:1], v[12:13]
	v_mul_f64_e32 v[0:1], v[16:17], v[0:1]
	v_fma_f64 v[102:103], v[14:15], v[2:3], -v[0:1]
	scratch_load_b128 v[12:15], off, off offset:796 th:TH_LOAD_LU ; 16-byte Folded Reload
	s_wait_loadcnt 0x0
	v_mul_f64_e32 v[0:1], v[14:15], v[6:7]
	s_delay_alu instid0(VALU_DEP_1)
	v_fma_f64 v[104:105], v[12:13], v[4:5], v[0:1]
	v_mul_f64_e32 v[0:1], v[14:15], v[4:5]
	scratch_load_b128 v[2:5], off, off offset:780 th:TH_LOAD_LU ; 16-byte Folded Reload
	v_fma_f64 v[106:107], v[12:13], v[6:7], -v[0:1]
	s_wait_loadcnt_dscnt 0x0
	v_mul_f64_e32 v[0:1], v[4:5], v[10:11]
	s_delay_alu instid0(VALU_DEP_1) | instskip(SKIP_1) | instid1(VALU_DEP_1)
	v_fma_f64 v[108:109], v[2:3], v[8:9], v[0:1]
	v_mul_f64_e32 v[0:1], v[4:5], v[8:9]
	v_fma_f64 v[110:111], v[2:3], v[10:11], -v[0:1]
	ds_load_b128 v[0:3], v152 offset:20736
	ds_load_b128 v[4:7], v152 offset:22032
	scratch_load_b128 v[10:13], off, off offset:812 th:TH_LOAD_LU ; 16-byte Folded Reload
	s_wait_loadcnt_dscnt 0x1
	v_mul_f64_e32 v[8:9], v[12:13], v[2:3]
	s_delay_alu instid0(VALU_DEP_1) | instskip(SKIP_1) | instid1(VALU_DEP_1)
	v_fma_f64 v[112:113], v[10:11], v[0:1], v[8:9]
	v_mul_f64_e32 v[0:1], v[12:13], v[0:1]
	v_fma_f64 v[114:115], v[10:11], v[2:3], -v[0:1]
	ds_load_b128 v[0:3], v152 offset:33696
	ds_load_b128 v[8:11], v152 offset:34992
	scratch_load_b128 v[14:17], off, off offset:828 th:TH_LOAD_LU ; 16-byte Folded Reload
	s_wait_loadcnt_dscnt 0x1
	v_mul_f64_e32 v[12:13], v[16:17], v[2:3]
	s_delay_alu instid0(VALU_DEP_1) | instskip(SKIP_1) | instid1(VALU_DEP_1)
	v_fma_f64 v[116:117], v[14:15], v[0:1], v[12:13]
	v_mul_f64_e32 v[0:1], v[16:17], v[0:1]
	v_fma_f64 v[118:119], v[14:15], v[2:3], -v[0:1]
	scratch_load_b128 v[14:17], off, off offset:860 th:TH_LOAD_LU ; 16-byte Folded Reload
	s_wait_loadcnt 0x0
	v_mul_f64_e32 v[0:1], v[16:17], v[6:7]
	s_delay_alu instid0(VALU_DEP_1)
	v_fma_f64 v[12:13], v[14:15], v[4:5], v[0:1]
	v_mul_f64_e32 v[0:1], v[16:17], v[4:5]
	scratch_load_b128 v[2:5], off, off offset:844 th:TH_LOAD_LU ; 16-byte Folded Reload
	v_fma_f64 v[18:19], v[14:15], v[6:7], -v[0:1]
	s_wait_loadcnt_dscnt 0x0
	v_mul_f64_e32 v[0:1], v[4:5], v[10:11]
	s_delay_alu instid0(VALU_DEP_1) | instskip(SKIP_1) | instid1(VALU_DEP_1)
	v_fma_f64 v[16:17], v[2:3], v[8:9], v[0:1]
	v_mul_f64_e32 v[0:1], v[4:5], v[8:9]
	v_fma_f64 v[22:23], v[2:3], v[10:11], -v[0:1]
	ds_load_b128 v[0:3], v152 offset:23328
	ds_load_b128 v[4:7], v152 offset:24624
	scratch_load_b128 v[24:27], off, off offset:892 th:TH_LOAD_LU ; 16-byte Folded Reload
	s_wait_loadcnt_dscnt 0x1
	v_mul_f64_e32 v[8:9], v[26:27], v[2:3]
	s_delay_alu instid0(VALU_DEP_1) | instskip(SKIP_1) | instid1(VALU_DEP_1)
	v_fma_f64 v[8:9], v[24:25], v[0:1], v[8:9]
	v_mul_f64_e32 v[0:1], v[26:27], v[0:1]
	v_fma_f64 v[10:11], v[24:25], v[2:3], -v[0:1]
	ds_load_b128 v[0:3], v152 offset:36288
	ds_load_b128 v[24:27], v152 offset:37584
	scratch_load_b128 v[28:31], off, off offset:956 th:TH_LOAD_LU ; 16-byte Folded Reload
	s_wait_loadcnt_dscnt 0x1
	v_mul_f64_e32 v[14:15], v[30:31], v[2:3]
	s_delay_alu instid0(VALU_DEP_1) | instskip(SKIP_1) | instid1(VALU_DEP_1)
	v_fma_f64 v[14:15], v[28:29], v[0:1], v[14:15]
	v_mul_f64_e32 v[0:1], v[30:31], v[0:1]
	v_fma_f64 v[20:21], v[28:29], v[2:3], -v[0:1]
	scratch_load_b128 v[28:31], off, off offset:1004 th:TH_LOAD_LU ; 16-byte Folded Reload
	s_wait_loadcnt 0x0
	v_mul_f64_e32 v[0:1], v[30:31], v[6:7]
	v_mul_f64_e32 v[2:3], v[30:31], v[4:5]
	s_delay_alu instid0(VALU_DEP_2) | instskip(NEXT) | instid1(VALU_DEP_2)
	v_fma_f64 v[0:1], v[28:29], v[4:5], v[0:1]
	v_fma_f64 v[4:5], v[28:29], v[6:7], -v[2:3]
	scratch_load_b128 v[28:31], off, off offset:988 th:TH_LOAD_LU ; 16-byte Folded Reload
	s_wait_loadcnt_dscnt 0x0
	v_mul_f64_e32 v[2:3], v[30:31], v[26:27]
	v_mul_f64_e32 v[6:7], v[30:31], v[24:25]
	s_delay_alu instid0(VALU_DEP_2) | instskip(NEXT) | instid1(VALU_DEP_2)
	v_fma_f64 v[2:3], v[28:29], v[24:25], v[2:3]
	v_fma_f64 v[6:7], v[28:29], v[26:27], -v[6:7]
	ds_load_b128 v[24:27], v152
	ds_load_b128 v[28:31], v152 offset:1296
	s_wait_dscnt 0x1
	v_fma_f64 v[50:51], v[50:51], -0.5, v[26:27]
	v_add_f64_e32 v[26:27], v[26:27], v[34:35]
	v_fma_f64 v[48:49], v[48:49], -0.5, v[24:25]
	v_add_f64_e32 v[24:25], v[24:25], v[32:33]
	v_add_f64_e64 v[34:35], v[34:35], -v[38:39]
	s_delay_alu instid0(VALU_DEP_4) | instskip(SKIP_1) | instid1(VALU_DEP_4)
	v_add_f64_e32 v[26:27], v[26:27], v[38:39]
	v_add_f64_e64 v[38:39], v[32:33], -v[36:37]
	v_add_f64_e32 v[24:25], v[24:25], v[36:37]
	s_delay_alu instid0(VALU_DEP_4)
	v_fma_f64 v[32:33], v[34:35], s[12:13], v[48:49]
	v_fma_f64 v[36:37], v[34:35], s[2:3], v[48:49]
	v_add_f64_e32 v[48:49], v[40:41], v[44:45]
	v_fma_f64 v[34:35], v[38:39], s[2:3], v[50:51]
	v_fma_f64 v[38:39], v[38:39], s[12:13], v[50:51]
	v_add_f64_e32 v[50:51], v[42:43], v[46:47]
	s_wait_dscnt 0x0
	s_delay_alu instid0(VALU_DEP_4) | instskip(SKIP_1) | instid1(VALU_DEP_3)
	v_fma_f64 v[48:49], v[48:49], -0.5, v[28:29]
	v_add_f64_e32 v[28:29], v[28:29], v[40:41]
	v_fma_f64 v[50:51], v[50:51], -0.5, v[30:31]
	v_add_f64_e32 v[30:31], v[30:31], v[42:43]
	v_add_f64_e64 v[42:43], v[42:43], -v[46:47]
	s_delay_alu instid0(VALU_DEP_4) | instskip(NEXT) | instid1(VALU_DEP_3)
	v_add_f64_e32 v[28:29], v[28:29], v[44:45]
	v_add_f64_e32 v[30:31], v[30:31], v[46:47]
	v_add_f64_e64 v[46:47], v[40:41], -v[44:45]
	s_delay_alu instid0(VALU_DEP_4) | instskip(SKIP_1) | instid1(VALU_DEP_3)
	v_fma_f64 v[40:41], v[42:43], s[12:13], v[48:49]
	v_fma_f64 v[44:45], v[42:43], s[2:3], v[48:49]
	;; [unrolled: 1-line block ×4, first 2 shown]
	ds_load_b128 v[48:51], v152 offset:2592
	ds_load_b128 v[52:55], v152 offset:3888
	s_wait_dscnt 0x1
	v_fma_f64 v[74:75], v[74:75], -0.5, v[50:51]
	v_add_f64_e32 v[50:51], v[50:51], v[58:59]
	v_fma_f64 v[72:73], v[72:73], -0.5, v[48:49]
	v_add_f64_e32 v[48:49], v[48:49], v[56:57]
	v_add_f64_e64 v[58:59], v[58:59], -v[62:63]
	s_delay_alu instid0(VALU_DEP_4) | instskip(SKIP_1) | instid1(VALU_DEP_4)
	v_add_f64_e32 v[50:51], v[50:51], v[62:63]
	v_add_f64_e64 v[62:63], v[56:57], -v[60:61]
	v_add_f64_e32 v[48:49], v[48:49], v[60:61]
	s_delay_alu instid0(VALU_DEP_4)
	v_fma_f64 v[56:57], v[58:59], s[12:13], v[72:73]
	v_fma_f64 v[60:61], v[58:59], s[2:3], v[72:73]
	v_add_f64_e32 v[72:73], v[64:65], v[68:69]
	v_fma_f64 v[58:59], v[62:63], s[2:3], v[74:75]
	v_fma_f64 v[62:63], v[62:63], s[12:13], v[74:75]
	v_add_f64_e32 v[74:75], v[66:67], v[70:71]
	s_wait_dscnt 0x0
	s_delay_alu instid0(VALU_DEP_4) | instskip(SKIP_1) | instid1(VALU_DEP_3)
	v_fma_f64 v[72:73], v[72:73], -0.5, v[52:53]
	v_add_f64_e32 v[52:53], v[52:53], v[64:65]
	v_fma_f64 v[74:75], v[74:75], -0.5, v[54:55]
	v_add_f64_e32 v[54:55], v[54:55], v[66:67]
	v_add_f64_e64 v[66:67], v[66:67], -v[70:71]
	s_delay_alu instid0(VALU_DEP_4) | instskip(NEXT) | instid1(VALU_DEP_3)
	v_add_f64_e32 v[52:53], v[52:53], v[68:69]
	v_add_f64_e32 v[54:55], v[54:55], v[70:71]
	v_add_f64_e64 v[70:71], v[64:65], -v[68:69]
	s_delay_alu instid0(VALU_DEP_4) | instskip(SKIP_1) | instid1(VALU_DEP_3)
	v_fma_f64 v[64:65], v[66:67], s[12:13], v[72:73]
	v_fma_f64 v[68:69], v[66:67], s[2:3], v[72:73]
	v_fma_f64 v[66:67], v[70:71], s[2:3], v[74:75]
	v_fma_f64 v[70:71], v[70:71], s[12:13], v[74:75]
	ds_load_b128 v[72:75], v152 offset:5184
	ds_load_b128 v[76:79], v152 offset:6480
	;; [unrolled: 1-line block ×6, first 2 shown]
	global_wb scope:SCOPE_SE
	s_wait_dscnt 0x0
	s_barrier_signal -1
	s_barrier_wait -1
	global_inv scope:SCOPE_SE
	ds_store_b128 v152, v[24:27]
	ds_store_b128 v152, v[28:31] offset:1296
	ds_store_b128 v152, v[48:51] offset:2592
	;; [unrolled: 1-line block ×8, first 2 shown]
	ds_store_b128 v204, v[52:55]
	ds_store_b128 v204, v[64:67] offset:4320
	ds_store_b128 v204, v[68:71] offset:8640
	v_add_f64_e32 v[24:25], v[96:97], v[100:101]
	v_add_f64_e32 v[28:29], v[72:73], v[96:97]
	v_add_f64_e64 v[32:33], v[98:99], -v[102:103]
	v_add_f64_e64 v[36:37], v[96:97], -v[100:101]
	v_add_f64_e32 v[40:41], v[76:77], v[104:105]
	v_add_f64_e64 v[44:45], v[106:107], -v[110:111]
	v_add_f64_e64 v[48:49], v[104:105], -v[108:109]
	;; [unrolled: 3-line block ×3, first 2 shown]
	v_fma_f64 v[30:31], v[24:25], -0.5, v[72:73]
	v_add_f64_e32 v[24:25], v[98:99], v[102:103]
	s_delay_alu instid0(VALU_DEP_1) | instskip(SKIP_1) | instid1(VALU_DEP_1)
	v_fma_f64 v[34:35], v[24:25], -0.5, v[74:75]
	v_add_f64_e32 v[24:25], v[74:75], v[98:99]
	v_add_f64_e32 v[26:27], v[24:25], v[102:103]
	;; [unrolled: 1-line block ×3, first 2 shown]
	v_fma_f64 v[28:29], v[32:33], s[12:13], v[30:31]
	v_fma_f64 v[32:33], v[32:33], s[2:3], v[30:31]
	;; [unrolled: 1-line block ×4, first 2 shown]
	v_add_f64_e32 v[36:37], v[104:105], v[108:109]
	s_delay_alu instid0(VALU_DEP_1) | instskip(SKIP_1) | instid1(VALU_DEP_1)
	v_fma_f64 v[42:43], v[36:37], -0.5, v[76:77]
	v_add_f64_e32 v[36:37], v[106:107], v[110:111]
	v_fma_f64 v[46:47], v[36:37], -0.5, v[78:79]
	v_add_f64_e32 v[36:37], v[78:79], v[106:107]
	s_delay_alu instid0(VALU_DEP_1)
	v_add_f64_e32 v[38:39], v[36:37], v[110:111]
	v_add_f64_e32 v[36:37], v[40:41], v[108:109]
	v_fma_f64 v[40:41], v[44:45], s[12:13], v[42:43]
	v_fma_f64 v[44:45], v[44:45], s[2:3], v[42:43]
	;; [unrolled: 1-line block ×4, first 2 shown]
	v_add_f64_e32 v[48:49], v[112:113], v[116:117]
	s_delay_alu instid0(VALU_DEP_1) | instskip(SKIP_1) | instid1(VALU_DEP_1)
	v_fma_f64 v[54:55], v[48:49], -0.5, v[80:81]
	v_add_f64_e32 v[48:49], v[114:115], v[118:119]
	v_fma_f64 v[58:59], v[48:49], -0.5, v[82:83]
	v_add_f64_e32 v[48:49], v[82:83], v[114:115]
	s_delay_alu instid0(VALU_DEP_1)
	v_add_f64_e32 v[50:51], v[48:49], v[118:119]
	v_add_f64_e32 v[48:49], v[52:53], v[116:117]
	v_fma_f64 v[52:53], v[56:57], s[12:13], v[54:55]
	v_fma_f64 v[56:57], v[56:57], s[2:3], v[54:55]
	;; [unrolled: 1-line block ×4, first 2 shown]
	ds_store_b128 v152, v[24:27] offset:13824
	ds_store_b128 v152, v[36:39] offset:15120
	ds_store_b128 v152, v[28:31] offset:18144
	ds_store_b128 v152, v[40:43] offset:19440
	ds_store_b128 v152, v[32:35] offset:22464
	ds_store_b128 v152, v[44:47] offset:23760
	ds_store_b128 v190, v[48:51]
	ds_store_b128 v190, v[52:55] offset:4320
	ds_store_b128 v190, v[56:59] offset:8640
	v_add_f64_e32 v[24:25], v[12:13], v[16:17]
	v_add_f64_e32 v[30:31], v[84:85], v[12:13]
	v_add_f64_e64 v[32:33], v[18:19], -v[22:23]
	v_add_f64_e64 v[12:13], v[12:13], -v[16:17]
	s_delay_alu instid0(VALU_DEP_4) | instskip(SKIP_1) | instid1(VALU_DEP_1)
	v_fma_f64 v[26:27], v[24:25], -0.5, v[84:85]
	v_add_f64_e32 v[24:25], v[18:19], v[22:23]
	v_fma_f64 v[28:29], v[24:25], -0.5, v[86:87]
	v_add_f64_e32 v[24:25], v[86:87], v[18:19]
	s_delay_alu instid0(VALU_DEP_2) | instskip(NEXT) | instid1(VALU_DEP_2)
	v_fma_f64 v[18:19], v[12:13], s[2:3], v[28:29]
	v_add_f64_e32 v[24:25], v[24:25], v[22:23]
	v_add_f64_e32 v[22:23], v[30:31], v[16:17]
	v_fma_f64 v[16:17], v[32:33], s[12:13], v[26:27]
	v_fma_f64 v[28:29], v[12:13], s[12:13], v[28:29]
	v_add_f64_e32 v[12:13], v[8:9], v[14:15]
	v_fma_f64 v[26:27], v[32:33], s[2:3], v[26:27]
	ds_store_b128 v151, v[16:19] offset:30240
	ds_store_b128 v151, v[22:25] offset:25920
	;; [unrolled: 1-line block ×3, first 2 shown]
	v_fma_f64 v[16:17], v[12:13], -0.5, v[88:89]
	v_add_f64_e32 v[12:13], v[10:11], v[20:21]
	v_add_f64_e32 v[18:19], v[88:89], v[8:9]
	v_add_f64_e64 v[24:25], v[10:11], -v[20:21]
	v_add_f64_e64 v[8:9], v[8:9], -v[14:15]
	s_delay_alu instid0(VALU_DEP_4)
	v_fma_f64 v[22:23], v[12:13], -0.5, v[90:91]
	v_add_f64_e32 v[12:13], v[90:91], v[10:11]
	v_add_f64_e32 v[10:11], v[18:19], v[14:15]
	v_fma_f64 v[14:15], v[24:25], s[12:13], v[16:17]
	v_fma_f64 v[18:19], v[24:25], s[2:3], v[16:17]
	;; [unrolled: 1-line block ×3, first 2 shown]
	v_add_f64_e32 v[12:13], v[12:13], v[20:21]
	v_fma_f64 v[20:21], v[8:9], s[12:13], v[22:23]
	ds_store_b128 v150, v[10:13] offset:25920
	ds_store_b128 v150, v[14:17] offset:30240
	;; [unrolled: 1-line block ×3, first 2 shown]
	v_add_f64_e32 v[8:9], v[0:1], v[2:3]
	v_add_f64_e32 v[10:11], v[4:5], v[6:7]
	v_add_f64_e32 v[12:13], v[94:95], v[4:5]
	v_add_f64_e32 v[14:15], v[92:93], v[0:1]
	v_add_f64_e64 v[16:17], v[4:5], -v[6:7]
	v_fma_f64 v[8:9], v[8:9], -0.5, v[92:93]
	v_fma_f64 v[10:11], v[10:11], -0.5, v[94:95]
	v_add_f64_e32 v[6:7], v[12:13], v[6:7]
	v_add_f64_e64 v[12:13], v[0:1], -v[2:3]
	v_add_f64_e32 v[4:5], v[14:15], v[2:3]
	v_fma_f64 v[0:1], v[16:17], s[12:13], v[8:9]
	v_fma_f64 v[8:9], v[16:17], s[2:3], v[8:9]
	s_delay_alu instid0(VALU_DEP_4)
	v_fma_f64 v[2:3], v[12:13], s[2:3], v[10:11]
	v_fma_f64 v[10:11], v[12:13], s[12:13], v[10:11]
	ds_store_b128 v149, v[4:7] offset:25920
	ds_store_b128 v149, v[0:3] offset:30240
	;; [unrolled: 1-line block ×3, first 2 shown]
	global_wb scope:SCOPE_SE
	s_wait_dscnt 0x0
	s_barrier_signal -1
	s_barrier_wait -1
	global_inv scope:SCOPE_SE
	ds_load_b128 v[2:5], v152 offset:12960
	ds_load_b128 v[6:9], v152 offset:14256
	scratch_load_b128 v[10:13], off, off offset:876 th:TH_LOAD_LU ; 16-byte Folded Reload
	s_wait_loadcnt_dscnt 0x1
	v_mul_f64_e32 v[0:1], v[12:13], v[4:5]
	s_delay_alu instid0(VALU_DEP_1) | instskip(SKIP_1) | instid1(VALU_DEP_1)
	v_fma_f64 v[0:1], v[10:11], v[2:3], v[0:1]
	v_mul_f64_e32 v[2:3], v[12:13], v[2:3]
	v_fma_f64 v[2:3], v[10:11], v[4:5], -v[2:3]
	ds_load_b128 v[10:13], v152 offset:25920
	ds_load_b128 v[18:21], v152 offset:27216
	scratch_load_b128 v[22:25], off, off offset:908 th:TH_LOAD_LU ; 16-byte Folded Reload
	s_wait_loadcnt_dscnt 0x1
	v_mul_f64_e32 v[4:5], v[24:25], v[12:13]
	s_delay_alu instid0(VALU_DEP_1) | instskip(SKIP_1) | instid1(VALU_DEP_1)
	v_fma_f64 v[16:17], v[22:23], v[10:11], v[4:5]
	v_mul_f64_e32 v[4:5], v[24:25], v[10:11]
	v_fma_f64 v[22:23], v[22:23], v[12:13], -v[4:5]
	scratch_load_b128 v[10:13], off, off offset:940 th:TH_LOAD_LU ; 16-byte Folded Reload
	s_wait_loadcnt 0x0
	v_mul_f64_e32 v[4:5], v[12:13], v[8:9]
	s_delay_alu instid0(VALU_DEP_1)
	v_fma_f64 v[4:5], v[10:11], v[6:7], v[4:5]
	v_mul_f64_e32 v[6:7], v[12:13], v[6:7]
	scratch_load_b128 v[12:15], off, off offset:924 th:TH_LOAD_LU ; 16-byte Folded Reload
	v_fma_f64 v[8:9], v[10:11], v[8:9], -v[6:7]
	s_wait_loadcnt_dscnt 0x0
	v_mul_f64_e32 v[6:7], v[14:15], v[20:21]
	s_delay_alu instid0(VALU_DEP_1) | instskip(SKIP_1) | instid1(VALU_DEP_1)
	v_fma_f64 v[10:11], v[12:13], v[18:19], v[6:7]
	v_mul_f64_e32 v[6:7], v[14:15], v[18:19]
	v_fma_f64 v[18:19], v[12:13], v[20:21], -v[6:7]
	ds_load_b128 v[12:15], v152 offset:15552
	ds_load_b128 v[24:27], v152 offset:16848
	scratch_load_b128 v[28:31], off, off offset:972 th:TH_LOAD_LU ; 16-byte Folded Reload
	s_wait_loadcnt_dscnt 0x1
	v_mul_f64_e32 v[6:7], v[30:31], v[14:15]
	s_delay_alu instid0(VALU_DEP_1) | instskip(SKIP_1) | instid1(VALU_DEP_1)
	v_fma_f64 v[6:7], v[28:29], v[12:13], v[6:7]
	v_mul_f64_e32 v[12:13], v[30:31], v[12:13]
	v_fma_f64 v[12:13], v[28:29], v[14:15], -v[12:13]
	ds_load_b128 v[28:31], v152 offset:28512
	ds_load_b128 v[38:41], v152 offset:29808
	scratch_load_b128 v[34:37], off, off offset:1020 th:TH_LOAD_LU ; 16-byte Folded Reload
	s_wait_loadcnt_dscnt 0x1
	v_mul_f64_e32 v[14:15], v[36:37], v[30:31]
	s_delay_alu instid0(VALU_DEP_1) | instskip(SKIP_1) | instid1(VALU_DEP_1)
	v_fma_f64 v[32:33], v[34:35], v[28:29], v[14:15]
	v_mul_f64_e32 v[14:15], v[36:37], v[28:29]
	v_fma_f64 v[36:37], v[34:35], v[30:31], -v[14:15]
	scratch_load_b128 v[28:31], off, off offset:1052 th:TH_LOAD_LU ; 16-byte Folded Reload
	s_wait_loadcnt 0x0
	v_mul_f64_e32 v[14:15], v[30:31], v[26:27]
	v_mul_f64_e32 v[20:21], v[30:31], v[24:25]
	s_delay_alu instid0(VALU_DEP_2) | instskip(NEXT) | instid1(VALU_DEP_2)
	v_fma_f64 v[14:15], v[28:29], v[24:25], v[14:15]
	v_fma_f64 v[48:49], v[28:29], v[26:27], -v[20:21]
	scratch_load_b128 v[28:31], off, off offset:1036 th:TH_LOAD_LU ; 16-byte Folded Reload
	s_wait_loadcnt_dscnt 0x0
	v_mul_f64_e32 v[20:21], v[30:31], v[40:41]
	s_delay_alu instid0(VALU_DEP_1) | instskip(SKIP_1) | instid1(VALU_DEP_1)
	v_fma_f64 v[26:27], v[28:29], v[38:39], v[20:21]
	v_mul_f64_e32 v[20:21], v[30:31], v[38:39]
	v_fma_f64 v[34:35], v[28:29], v[40:41], -v[20:21]
	ds_load_b128 v[28:31], v152 offset:18144
	ds_load_b128 v[38:41], v152 offset:19440
	scratch_load_b128 v[42:45], off, off offset:1068 th:TH_LOAD_LU ; 16-byte Folded Reload
	s_wait_loadcnt_dscnt 0x1
	v_mul_f64_e32 v[20:21], v[44:45], v[30:31]
	v_mul_f64_e32 v[24:25], v[44:45], v[28:29]
	ds_load_b128 v[44:47], v152 offset:31104
	ds_load_b128 v[50:53], v152 offset:32400
	scratch_load_b128 v[54:57], off, off offset:1084 th:TH_LOAD_LU ; 16-byte Folded Reload
	v_fma_f64 v[20:21], v[42:43], v[28:29], v[20:21]
	v_fma_f64 v[28:29], v[42:43], v[30:31], -v[24:25]
	s_wait_loadcnt_dscnt 0x1
	v_mul_f64_e32 v[24:25], v[56:57], v[46:47]
	s_delay_alu instid0(VALU_DEP_1) | instskip(SKIP_1) | instid1(VALU_DEP_1)
	v_fma_f64 v[42:43], v[54:55], v[44:45], v[24:25]
	v_mul_f64_e32 v[24:25], v[56:57], v[44:45]
	v_fma_f64 v[46:47], v[54:55], v[46:47], -v[24:25]
	scratch_load_b128 v[54:57], off, off offset:1116 th:TH_LOAD_LU ; 16-byte Folded Reload
	s_wait_loadcnt 0x0
	v_mul_f64_e32 v[24:25], v[56:57], v[40:41]
	s_delay_alu instid0(VALU_DEP_1) | instskip(SKIP_1) | instid1(VALU_DEP_1)
	v_fma_f64 v[30:31], v[54:55], v[38:39], v[24:25]
	v_mul_f64_e32 v[24:25], v[56:57], v[38:39]
	v_fma_f64 v[38:39], v[54:55], v[40:41], -v[24:25]
	scratch_load_b128 v[54:57], off, off offset:1100 th:TH_LOAD_LU ; 16-byte Folded Reload
	s_wait_loadcnt_dscnt 0x0
	v_mul_f64_e32 v[24:25], v[56:57], v[52:53]
	s_delay_alu instid0(VALU_DEP_1) | instskip(SKIP_1) | instid1(VALU_DEP_1)
	v_fma_f64 v[40:41], v[54:55], v[50:51], v[24:25]
	v_mul_f64_e32 v[24:25], v[56:57], v[50:51]
	v_fma_f64 v[44:45], v[54:55], v[52:53], -v[24:25]
	ds_load_b128 v[50:53], v152 offset:20736
	ds_load_b128 v[54:57], v152 offset:22032
	scratch_load_b128 v[58:61], off, off offset:492 th:TH_LOAD_LU ; 16-byte Folded Reload
	s_wait_loadcnt_dscnt 0x1
	v_mul_f64_e32 v[24:25], v[60:61], v[52:53]
	s_delay_alu instid0(VALU_DEP_1) | instskip(SKIP_1) | instid1(VALU_DEP_1)
	v_fma_f64 v[86:87], v[58:59], v[50:51], v[24:25]
	v_mul_f64_e32 v[24:25], v[60:61], v[50:51]
	v_fma_f64 v[88:89], v[58:59], v[52:53], -v[24:25]
	ds_load_b128 v[50:53], v152 offset:33696
	ds_load_b128 v[58:61], v152 offset:34992
	scratch_load_b128 v[62:65], off, off offset:508 th:TH_LOAD_LU ; 16-byte Folded Reload
	s_wait_loadcnt_dscnt 0x1
	v_mul_f64_e32 v[24:25], v[64:65], v[52:53]
	s_delay_alu instid0(VALU_DEP_1) | instskip(SKIP_1) | instid1(VALU_DEP_1)
	v_fma_f64 v[90:91], v[62:63], v[50:51], v[24:25]
	v_mul_f64_e32 v[24:25], v[64:65], v[50:51]
	v_fma_f64 v[92:93], v[62:63], v[52:53], -v[24:25]
	scratch_load_b128 v[50:53], off, off offset:540 th:TH_LOAD_LU ; 16-byte Folded Reload
	s_wait_loadcnt 0x0
	v_mul_f64_e32 v[24:25], v[52:53], v[56:57]
	s_delay_alu instid0(VALU_DEP_1) | instskip(SKIP_1) | instid1(VALU_DEP_1)
	v_fma_f64 v[94:95], v[50:51], v[54:55], v[24:25]
	v_mul_f64_e32 v[24:25], v[52:53], v[54:55]
	v_fma_f64 v[96:97], v[50:51], v[56:57], -v[24:25]
	scratch_load_b128 v[50:53], off, off offset:524 th:TH_LOAD_LU ; 16-byte Folded Reload
	s_wait_loadcnt_dscnt 0x0
	v_mul_f64_e32 v[24:25], v[52:53], v[60:61]
	s_delay_alu instid0(VALU_DEP_1) | instskip(SKIP_1) | instid1(VALU_DEP_1)
	v_fma_f64 v[98:99], v[50:51], v[58:59], v[24:25]
	v_mul_f64_e32 v[24:25], v[52:53], v[58:59]
	v_fma_f64 v[100:101], v[50:51], v[60:61], -v[24:25]
	ds_load_b128 v[50:53], v152 offset:23328
	ds_load_b128 v[54:57], v152 offset:24624
	scratch_load_b128 v[58:61], off, off offset:556 th:TH_LOAD_LU ; 16-byte Folded Reload
	s_wait_loadcnt_dscnt 0x1
	v_mul_f64_e32 v[24:25], v[60:61], v[52:53]
	s_delay_alu instid0(VALU_DEP_1) | instskip(SKIP_1) | instid1(VALU_DEP_1)
	v_fma_f64 v[110:111], v[58:59], v[50:51], v[24:25]
	v_mul_f64_e32 v[24:25], v[60:61], v[50:51]
	v_fma_f64 v[112:113], v[58:59], v[52:53], -v[24:25]
	ds_load_b128 v[50:53], v152 offset:36288
	ds_load_b128 v[58:61], v152 offset:37584
	scratch_load_b128 v[62:65], off, off offset:572 th:TH_LOAD_LU ; 16-byte Folded Reload
	s_wait_loadcnt_dscnt 0x1
	v_mul_f64_e32 v[24:25], v[64:65], v[52:53]
	s_delay_alu instid0(VALU_DEP_1) | instskip(SKIP_1) | instid1(VALU_DEP_1)
	v_fma_f64 v[114:115], v[62:63], v[50:51], v[24:25]
	v_mul_f64_e32 v[24:25], v[64:65], v[50:51]
	v_fma_f64 v[116:117], v[62:63], v[52:53], -v[24:25]
	scratch_load_b128 v[50:53], off, off offset:604 th:TH_LOAD_LU ; 16-byte Folded Reload
	s_wait_loadcnt 0x0
	v_mul_f64_e32 v[24:25], v[52:53], v[56:57]
	s_delay_alu instid0(VALU_DEP_1) | instskip(SKIP_1) | instid1(VALU_DEP_1)
	v_fma_f64 v[118:119], v[50:51], v[54:55], v[24:25]
	v_mul_f64_e32 v[24:25], v[52:53], v[54:55]
	v_fma_f64 v[120:121], v[50:51], v[56:57], -v[24:25]
	scratch_load_b128 v[50:53], off, off offset:588 th:TH_LOAD_LU ; 16-byte Folded Reload
	s_wait_loadcnt_dscnt 0x0
	v_mul_f64_e32 v[24:25], v[52:53], v[60:61]
	s_delay_alu instid0(VALU_DEP_1) | instskip(SKIP_1) | instid1(VALU_DEP_1)
	v_fma_f64 v[122:123], v[50:51], v[58:59], v[24:25]
	v_mul_f64_e32 v[24:25], v[52:53], v[58:59]
	v_fma_f64 v[124:125], v[50:51], v[60:61], -v[24:25]
	v_add_f64_e32 v[24:25], v[0:1], v[16:17]
	ds_load_b128 v[50:53], v152
	ds_load_b128 v[54:57], v152 offset:1296
	s_wait_dscnt 0x1
	v_fma_f64 v[58:59], v[24:25], -0.5, v[50:51]
	v_add_f64_e32 v[24:25], v[2:3], v[22:23]
	v_add_f64_e32 v[50:51], v[50:51], v[0:1]
	s_delay_alu instid0(VALU_DEP_2) | instskip(SKIP_2) | instid1(VALU_DEP_2)
	v_fma_f64 v[60:61], v[24:25], -0.5, v[52:53]
	v_add_f64_e32 v[24:25], v[52:53], v[2:3]
	v_add_f64_e64 v[2:3], v[2:3], -v[22:23]
	v_add_f64_e32 v[24:25], v[24:25], v[22:23]
	v_add_f64_e32 v[22:23], v[50:51], v[16:17]
	v_add_f64_e64 v[16:17], v[0:1], -v[16:17]
	s_delay_alu instid0(VALU_DEP_4) | instskip(SKIP_1) | instid1(VALU_DEP_3)
	v_fma_f64 v[0:1], v[2:3], s[12:13], v[58:59]
	v_fma_f64 v[50:51], v[2:3], s[2:3], v[58:59]
	;; [unrolled: 1-line block ×4, first 2 shown]
	v_add_f64_e32 v[16:17], v[4:5], v[10:11]
	s_wait_dscnt 0x0
	s_delay_alu instid0(VALU_DEP_1) | instskip(SKIP_3) | instid1(VALU_DEP_3)
	v_fma_f64 v[58:59], v[16:17], -0.5, v[54:55]
	v_add_f64_e32 v[16:17], v[8:9], v[18:19]
	v_add_f64_e32 v[54:55], v[54:55], v[4:5]
	v_add_f64_e64 v[4:5], v[4:5], -v[10:11]
	v_fma_f64 v[60:61], v[16:17], -0.5, v[56:57]
	v_add_f64_e32 v[16:17], v[56:57], v[8:9]
	v_add_f64_e64 v[56:57], v[8:9], -v[18:19]
	s_delay_alu instid0(VALU_DEP_2) | instskip(SKIP_1) | instid1(VALU_DEP_3)
	v_add_f64_e32 v[18:19], v[16:17], v[18:19]
	v_add_f64_e32 v[16:17], v[54:55], v[10:11]
	v_fma_f64 v[8:9], v[56:57], s[12:13], v[58:59]
	v_fma_f64 v[54:55], v[56:57], s[2:3], v[58:59]
	;; [unrolled: 1-line block ×4, first 2 shown]
	v_add_f64_e32 v[4:5], v[6:7], v[32:33]
	ds_load_b128 v[58:61], v152 offset:2592
	ds_load_b128 v[62:65], v152 offset:3888
	s_wait_dscnt 0x1
	v_fma_f64 v[66:67], v[4:5], -0.5, v[58:59]
	v_add_f64_e32 v[4:5], v[12:13], v[36:37]
	v_add_f64_e32 v[58:59], v[58:59], v[6:7]
	s_delay_alu instid0(VALU_DEP_2) | instskip(SKIP_2) | instid1(VALU_DEP_4)
	v_fma_f64 v[68:69], v[4:5], -0.5, v[60:61]
	v_add_f64_e32 v[4:5], v[60:61], v[12:13]
	v_add_f64_e64 v[12:13], v[12:13], -v[36:37]
	v_add_f64_e32 v[58:59], v[58:59], v[32:33]
	v_add_f64_e64 v[32:33], v[6:7], -v[32:33]
	s_delay_alu instid0(VALU_DEP_4) | instskip(NEXT) | instid1(VALU_DEP_4)
	v_add_f64_e32 v[60:61], v[4:5], v[36:37]
	v_fma_f64 v[4:5], v[12:13], s[12:13], v[66:67]
	v_fma_f64 v[66:67], v[12:13], s[2:3], v[66:67]
	v_add_f64_e32 v[12:13], v[14:15], v[26:27]
	v_fma_f64 v[6:7], v[32:33], s[2:3], v[68:69]
	v_fma_f64 v[68:69], v[32:33], s[12:13], v[68:69]
	s_wait_dscnt 0x0
	v_add_f64_e32 v[32:33], v[62:63], v[14:15]
	s_delay_alu instid0(VALU_DEP_4) | instskip(SKIP_1) | instid1(VALU_DEP_3)
	v_fma_f64 v[36:37], v[12:13], -0.5, v[62:63]
	v_add_f64_e32 v[12:13], v[48:49], v[34:35]
	v_add_f64_e32 v[32:33], v[32:33], v[26:27]
	v_add_f64_e64 v[26:27], v[14:15], -v[26:27]
	s_delay_alu instid0(VALU_DEP_3) | instskip(SKIP_2) | instid1(VALU_DEP_3)
	v_fma_f64 v[70:71], v[12:13], -0.5, v[64:65]
	v_add_f64_e32 v[12:13], v[64:65], v[48:49]
	v_add_f64_e64 v[48:49], v[48:49], -v[34:35]
	v_fma_f64 v[14:15], v[26:27], s[2:3], v[70:71]
	v_fma_f64 v[64:65], v[26:27], s[12:13], v[70:71]
	v_add_f64_e32 v[26:27], v[20:21], v[42:43]
	ds_load_b128 v[70:73], v152 offset:5184
	ds_load_b128 v[74:77], v152 offset:6480
	v_add_f64_e32 v[34:35], v[12:13], v[34:35]
	v_fma_f64 v[12:13], v[48:49], s[12:13], v[36:37]
	v_fma_f64 v[62:63], v[48:49], s[2:3], v[36:37]
	s_wait_dscnt 0x1
	v_add_f64_e32 v[48:49], v[70:71], v[20:21]
	v_add_f64_e64 v[20:21], v[20:21], -v[42:43]
	v_fma_f64 v[36:37], v[26:27], -0.5, v[70:71]
	v_add_f64_e32 v[26:27], v[28:29], v[46:47]
	v_add_f64_e64 v[70:71], v[28:29], -v[46:47]
	s_delay_alu instid0(VALU_DEP_2) | instskip(SKIP_1) | instid1(VALU_DEP_2)
	v_fma_f64 v[78:79], v[26:27], -0.5, v[72:73]
	v_add_f64_e32 v[26:27], v[72:73], v[28:29]
	v_fma_f64 v[72:73], v[20:21], s[12:13], v[78:79]
	s_delay_alu instid0(VALU_DEP_2)
	v_add_f64_e32 v[28:29], v[26:27], v[46:47]
	v_add_f64_e32 v[26:27], v[48:49], v[42:43]
	v_fma_f64 v[46:47], v[70:71], s[12:13], v[36:37]
	v_fma_f64 v[70:71], v[70:71], s[2:3], v[36:37]
	;; [unrolled: 1-line block ×3, first 2 shown]
	v_add_f64_e32 v[20:21], v[30:31], v[40:41]
	v_add_f64_e32 v[36:37], v[38:39], v[44:45]
	s_wait_dscnt 0x0
	v_add_f64_e32 v[42:43], v[74:75], v[30:31]
	v_add_f64_e64 v[30:31], v[30:31], -v[40:41]
	s_delay_alu instid0(VALU_DEP_4) | instskip(NEXT) | instid1(VALU_DEP_4)
	v_fma_f64 v[20:21], v[20:21], -0.5, v[74:75]
	v_fma_f64 v[78:79], v[36:37], -0.5, v[76:77]
	v_add_f64_e32 v[36:37], v[76:77], v[38:39]
	v_add_f64_e64 v[74:75], v[38:39], -v[44:45]
	s_delay_alu instid0(VALU_DEP_3) | instskip(NEXT) | instid1(VALU_DEP_3)
	v_fma_f64 v[76:77], v[30:31], s[12:13], v[78:79]
	v_add_f64_e32 v[38:39], v[36:37], v[44:45]
	v_add_f64_e32 v[36:37], v[42:43], v[40:41]
	s_delay_alu instid0(VALU_DEP_4)
	v_fma_f64 v[40:41], v[74:75], s[12:13], v[20:21]
	v_fma_f64 v[74:75], v[74:75], s[2:3], v[20:21]
	;; [unrolled: 1-line block ×3, first 2 shown]
	v_add_f64_e32 v[20:21], v[86:87], v[90:91]
	ds_load_b128 v[78:81], v152 offset:7776
	ds_load_b128 v[82:85], v152 offset:9072
	v_add_f64_e32 v[30:31], v[88:89], v[92:93]
	ds_load_b128 v[102:105], v152 offset:10368
	ds_load_b128 v[106:109], v152 offset:11664
	s_wait_dscnt 0x3
	v_add_f64_e32 v[44:45], v[80:81], v[88:89]
	v_add_f64_e64 v[88:89], v[88:89], -v[92:93]
	v_fma_f64 v[20:21], v[20:21], -0.5, v[78:79]
	v_add_f64_e32 v[78:79], v[78:79], v[86:87]
	v_fma_f64 v[30:31], v[30:31], -0.5, v[80:81]
	v_add_f64_e32 v[80:81], v[44:45], v[92:93]
	v_add_f64_e64 v[44:45], v[86:87], -v[90:91]
	v_fma_f64 v[86:87], v[88:89], s[12:13], v[20:21]
	v_add_f64_e32 v[78:79], v[78:79], v[90:91]
	v_fma_f64 v[90:91], v[88:89], s[2:3], v[20:21]
	v_add_f64_e32 v[20:21], v[94:95], v[98:99]
	v_fma_f64 v[88:89], v[44:45], s[2:3], v[30:31]
	v_fma_f64 v[92:93], v[44:45], s[12:13], v[30:31]
	v_add_f64_e32 v[30:31], v[96:97], v[100:101]
	s_wait_dscnt 0x2
	v_add_f64_e32 v[44:45], v[84:85], v[96:97]
	v_add_f64_e64 v[96:97], v[96:97], -v[100:101]
	v_fma_f64 v[20:21], v[20:21], -0.5, v[82:83]
	v_add_f64_e32 v[82:83], v[82:83], v[94:95]
	v_fma_f64 v[30:31], v[30:31], -0.5, v[84:85]
	v_add_f64_e32 v[84:85], v[44:45], v[100:101]
	v_add_f64_e64 v[44:45], v[94:95], -v[98:99]
	v_fma_f64 v[94:95], v[96:97], s[12:13], v[20:21]
	v_add_f64_e32 v[82:83], v[82:83], v[98:99]
	v_fma_f64 v[98:99], v[96:97], s[2:3], v[20:21]
	v_add_f64_e32 v[20:21], v[110:111], v[114:115]
	v_fma_f64 v[96:97], v[44:45], s[2:3], v[30:31]
	v_fma_f64 v[100:101], v[44:45], s[12:13], v[30:31]
	v_add_f64_e32 v[30:31], v[112:113], v[116:117]
	;; [unrolled: 15-line block ×3, first 2 shown]
	s_wait_dscnt 0x0
	v_add_f64_e32 v[44:45], v[108:109], v[120:121]
	v_add_f64_e64 v[120:121], v[120:121], -v[124:125]
	v_fma_f64 v[20:21], v[20:21], -0.5, v[106:107]
	v_add_f64_e32 v[106:107], v[106:107], v[118:119]
	v_fma_f64 v[30:31], v[30:31], -0.5, v[108:109]
	v_add_f64_e32 v[108:109], v[44:45], v[124:125]
	v_add_f64_e64 v[44:45], v[118:119], -v[122:123]
	v_fma_f64 v[118:119], v[120:121], s[12:13], v[20:21]
	v_add_f64_e32 v[106:107], v[106:107], v[122:123]
	v_fma_f64 v[122:123], v[120:121], s[2:3], v[20:21]
	s_delay_alu instid0(VALU_DEP_4)
	v_fma_f64 v[120:121], v[44:45], s[2:3], v[30:31]
	v_fma_f64 v[124:125], v[44:45], s[12:13], v[30:31]
	ds_store_b128 v152, v[22:25]
	ds_store_b128 v152, v[16:19] offset:1296
	ds_store_b128 v152, v[58:61] offset:2592
	;; [unrolled: 1-line block ×29, first 2 shown]
	global_wb scope:SCOPE_SE
	s_wait_dscnt 0x0
	s_barrier_signal -1
	s_barrier_wait -1
	global_inv scope:SCOPE_SE
	ds_load_b128 v[0:3], v152
	ds_load_b128 v[4:7], v152 offset:1296
	scratch_load_b128 v[10:13], off, off offset:472 th:TH_LOAD_LU ; 16-byte Folded Reload
	s_mul_u64 s[2:3], s[4:5], 0xf30
	s_wait_loadcnt_dscnt 0x1
	v_mul_f64_e32 v[8:9], v[12:13], v[2:3]
	s_delay_alu instid0(VALU_DEP_1) | instskip(SKIP_1) | instid1(VALU_DEP_1)
	v_fma_f64 v[44:45], v[10:11], v[0:1], v[8:9]
	v_mul_f64_e32 v[0:1], v[12:13], v[0:1]
	v_fma_f64 v[46:47], v[10:11], v[2:3], -v[0:1]
	ds_load_b128 v[0:3], v152 offset:3888
	ds_load_b128 v[8:11], v152 offset:2592
	scratch_load_b128 v[14:17], off, off offset:296 th:TH_LOAD_LU ; 16-byte Folded Reload
	s_wait_loadcnt_dscnt 0x1
	v_mul_f64_e32 v[12:13], v[16:17], v[2:3]
	s_delay_alu instid0(VALU_DEP_1) | instskip(SKIP_1) | instid1(VALU_DEP_1)
	v_fma_f64 v[48:49], v[14:15], v[0:1], v[12:13]
	v_mul_f64_e32 v[0:1], v[16:17], v[0:1]
	v_fma_f64 v[50:51], v[14:15], v[2:3], -v[0:1]
	ds_load_b128 v[0:3], v152 offset:7776
	ds_load_b128 v[12:15], v152 offset:9072
	scratch_load_b128 v[18:21], off, off offset:264 th:TH_LOAD_LU ; 16-byte Folded Reload
	s_wait_loadcnt_dscnt 0x1
	v_mul_f64_e32 v[16:17], v[20:21], v[2:3]
	s_delay_alu instid0(VALU_DEP_1) | instskip(SKIP_1) | instid1(VALU_DEP_1)
	v_fma_f64 v[52:53], v[18:19], v[0:1], v[16:17]
	v_mul_f64_e32 v[0:1], v[20:21], v[0:1]
	v_fma_f64 v[54:55], v[18:19], v[2:3], -v[0:1]
	ds_load_b128 v[0:3], v152 offset:11664
	ds_load_b128 v[16:19], v152 offset:10368
	scratch_load_b128 v[22:25], off, off offset:56 th:TH_LOAD_LU ; 16-byte Folded Reload
	s_wait_loadcnt_dscnt 0x1
	v_mul_f64_e32 v[20:21], v[24:25], v[2:3]
	s_delay_alu instid0(VALU_DEP_1) | instskip(SKIP_1) | instid1(VALU_DEP_1)
	v_fma_f64 v[56:57], v[22:23], v[0:1], v[20:21]
	v_mul_f64_e32 v[0:1], v[24:25], v[0:1]
	v_fma_f64 v[58:59], v[22:23], v[2:3], -v[0:1]
	ds_load_b128 v[0:3], v152 offset:15552
	ds_load_b128 v[20:23], v152 offset:16848
	scratch_load_b128 v[26:29], off, off offset:168 th:TH_LOAD_LU ; 16-byte Folded Reload
	s_wait_loadcnt_dscnt 0x1
	v_mul_f64_e32 v[24:25], v[28:29], v[2:3]
	s_delay_alu instid0(VALU_DEP_1) | instskip(SKIP_1) | instid1(VALU_DEP_1)
	v_fma_f64 v[60:61], v[26:27], v[0:1], v[24:25]
	v_mul_f64_e32 v[0:1], v[28:29], v[0:1]
	v_fma_f64 v[62:63], v[26:27], v[2:3], -v[0:1]
	ds_load_b128 v[0:3], v152 offset:19440
	ds_load_b128 v[24:27], v152 offset:18144
	scratch_load_b128 v[30:33], off, off offset:88 th:TH_LOAD_LU ; 16-byte Folded Reload
	s_wait_loadcnt_dscnt 0x1
	v_mul_f64_e32 v[28:29], v[32:33], v[2:3]
	s_delay_alu instid0(VALU_DEP_1) | instskip(SKIP_1) | instid1(VALU_DEP_1)
	v_fma_f64 v[64:65], v[30:31], v[0:1], v[28:29]
	v_mul_f64_e32 v[0:1], v[32:33], v[0:1]
	v_fma_f64 v[66:67], v[30:31], v[2:3], -v[0:1]
	ds_load_b128 v[0:3], v152 offset:23328
	ds_load_b128 v[28:31], v152 offset:24624
	scratch_load_b128 v[34:37], off, off offset:72 th:TH_LOAD_LU ; 16-byte Folded Reload
	s_wait_loadcnt_dscnt 0x1
	v_mul_f64_e32 v[32:33], v[36:37], v[2:3]
	s_delay_alu instid0(VALU_DEP_1) | instskip(SKIP_1) | instid1(VALU_DEP_1)
	v_fma_f64 v[68:69], v[34:35], v[0:1], v[32:33]
	v_mul_f64_e32 v[0:1], v[36:37], v[0:1]
	v_fma_f64 v[70:71], v[34:35], v[2:3], -v[0:1]
	ds_load_b128 v[0:3], v152 offset:27216
	ds_load_b128 v[32:35], v152 offset:25920
	scratch_load_b128 v[38:41], off, off offset:8 th:TH_LOAD_LU ; 16-byte Folded Reload
	s_wait_loadcnt_dscnt 0x1
	v_mul_f64_e32 v[36:37], v[40:41], v[2:3]
	s_delay_alu instid0(VALU_DEP_1) | instskip(SKIP_1) | instid1(VALU_DEP_1)
	v_fma_f64 v[72:73], v[38:39], v[0:1], v[36:37]
	v_mul_f64_e32 v[0:1], v[40:41], v[0:1]
	v_fma_f64 v[74:75], v[38:39], v[2:3], -v[0:1]
	ds_load_b128 v[0:3], v152 offset:31104
	ds_load_b128 v[36:39], v152 offset:32400
	scratch_load_b128 v[78:81], off, off offset:24 th:TH_LOAD_LU ; 16-byte Folded Reload
	s_wait_loadcnt_dscnt 0x1
	v_mul_f64_e32 v[40:41], v[80:81], v[2:3]
	s_delay_alu instid0(VALU_DEP_1) | instskip(SKIP_1) | instid1(VALU_DEP_1)
	v_fma_f64 v[76:77], v[78:79], v[0:1], v[40:41]
	v_mul_f64_e32 v[0:1], v[80:81], v[0:1]
	v_fma_f64 v[78:79], v[78:79], v[2:3], -v[0:1]
	ds_load_b128 v[0:3], v152 offset:34992
	ds_load_b128 v[40:43], v152 offset:33696
	s_clause 0x1
	scratch_load_b128 v[82:85], off, off offset:40 th:TH_LOAD_LU
	scratch_load_b128 v[86:89], off, off offset:104 th:TH_LOAD_LU
	s_wait_loadcnt_dscnt 0x101
	v_mul_f64_e32 v[80:81], v[84:85], v[2:3]
	s_delay_alu instid0(VALU_DEP_1) | instskip(SKIP_1) | instid1(VALU_DEP_1)
	v_fma_f64 v[80:81], v[82:83], v[0:1], v[80:81]
	v_mul_f64_e32 v[0:1], v[84:85], v[0:1]
	v_fma_f64 v[82:83], v[82:83], v[2:3], -v[0:1]
	s_wait_loadcnt 0x0
	v_mul_f64_e32 v[0:1], v[88:89], v[6:7]
	s_delay_alu instid0(VALU_DEP_1) | instskip(SKIP_1) | instid1(VALU_DEP_1)
	v_fma_f64 v[84:85], v[86:87], v[4:5], v[0:1]
	v_mul_f64_e32 v[0:1], v[88:89], v[4:5]
	v_fma_f64 v[86:87], v[86:87], v[6:7], -v[0:1]
	ds_load_b128 v[0:3], v152 offset:5184
	ds_load_b128 v[4:7], v152 offset:6480
	s_clause 0x1
	scratch_load_b128 v[90:93], off, off offset:120 th:TH_LOAD_LU
	scratch_load_b128 v[94:97], off, off offset:136 th:TH_LOAD_LU
	s_wait_loadcnt_dscnt 0x101
	v_mul_f64_e32 v[88:89], v[92:93], v[2:3]
	s_delay_alu instid0(VALU_DEP_1) | instskip(SKIP_1) | instid1(VALU_DEP_1)
	v_fma_f64 v[88:89], v[90:91], v[0:1], v[88:89]
	v_mul_f64_e32 v[0:1], v[92:93], v[0:1]
	v_fma_f64 v[90:91], v[90:91], v[2:3], -v[0:1]
	s_wait_loadcnt 0x0
	;; [unrolled: 17-line block ×6, first 2 shown]
	v_mul_f64_e32 v[0:1], v[128:129], v[10:11]
	s_delay_alu instid0(VALU_DEP_1) | instskip(SKIP_1) | instid1(VALU_DEP_1)
	v_fma_f64 v[124:125], v[126:127], v[8:9], v[0:1]
	v_mul_f64_e32 v[0:1], v[128:129], v[8:9]
	v_fma_f64 v[126:127], v[126:127], v[10:11], -v[0:1]
	scratch_load_b128 v[8:11], off, off offset:328 th:TH_LOAD_LU ; 16-byte Folded Reload
	s_wait_loadcnt 0x0
	v_mul_f64_e32 v[0:1], v[10:11], v[6:7]
	s_delay_alu instid0(VALU_DEP_1)
	v_fma_f64 v[128:129], v[8:9], v[4:5], v[0:1]
	v_mul_f64_e32 v[0:1], v[10:11], v[4:5]
	scratch_load_b128 v[2:5], off, off offset:344 th:TH_LOAD_LU ; 16-byte Folded Reload
	v_fma_f64 v[130:131], v[8:9], v[6:7], -v[0:1]
	s_wait_loadcnt 0x0
	v_mul_f64_e32 v[0:1], v[4:5], v[18:19]
	s_delay_alu instid0(VALU_DEP_1) | instskip(SKIP_1) | instid1(VALU_DEP_1)
	v_fma_f64 v[132:133], v[2:3], v[16:17], v[0:1]
	v_mul_f64_e32 v[0:1], v[4:5], v[16:17]
	v_fma_f64 v[134:135], v[2:3], v[18:19], -v[0:1]
	scratch_load_b128 v[2:5], off, off offset:360 th:TH_LOAD_LU ; 16-byte Folded Reload
	s_wait_loadcnt 0x0
	v_mul_f64_e32 v[0:1], v[4:5], v[14:15]
	s_delay_alu instid0(VALU_DEP_1) | instskip(SKIP_1) | instid1(VALU_DEP_1)
	v_fma_f64 v[136:137], v[2:3], v[12:13], v[0:1]
	v_mul_f64_e32 v[0:1], v[4:5], v[12:13]
	v_fma_f64 v[138:139], v[2:3], v[14:15], -v[0:1]
	scratch_load_b128 v[2:5], off, off offset:376 th:TH_LOAD_LU ; 16-byte Folded Reload
	;; [unrolled: 7-line block ×7, first 2 shown]
	s_wait_loadcnt_dscnt 0x0
	v_mul_f64_e32 v[0:1], v[4:5], v[38:39]
	s_delay_alu instid0(VALU_DEP_1)
	v_fma_f64 v[160:161], v[2:3], v[36:37], v[0:1]
	v_mul_f64_e32 v[0:1], v[4:5], v[36:37]
	scratch_load_b32 v4, off, off offset:1132 th:TH_LOAD_LU ; 4-byte Folded Reload
	v_fma_f64 v[162:163], v[2:3], v[38:39], -v[0:1]
	scratch_load_b64 v[2:3], off, off th:TH_LOAD_LU ; 8-byte Folded Reload
	s_wait_loadcnt 0x0
	v_mad_co_u64_u32 v[0:1], null, s6, v2, 0
	s_delay_alu instid0(VALU_DEP_1) | instskip(SKIP_1) | instid1(VALU_DEP_2)
	v_mad_co_u64_u32 v[1:2], null, s7, v2, v[1:2]
	v_mad_co_u64_u32 v[2:3], null, s4, v4, 0
	v_lshlrev_b64_e32 v[0:1], 4, v[0:1]
	s_delay_alu instid0(VALU_DEP_2) | instskip(SKIP_1) | instid1(VALU_DEP_2)
	v_mad_co_u64_u32 v[3:4], null, s5, v4, v[3:4]
	s_mul_i32 s5, s5, 0xffff7c60
	v_add_co_u32 v4, vcc_lo, s0, v0
	s_wait_alu 0xfffd
	s_delay_alu instid0(VALU_DEP_3) | instskip(NEXT) | instid1(VALU_DEP_3)
	v_add_co_ci_u32_e32 v5, vcc_lo, s1, v1, vcc_lo
	v_lshlrev_b64_e32 v[0:1], 4, v[2:3]
	s_mov_b32 s0, 0x40e53dbc
	s_mov_b32 s1, 0x3f3af834
	s_wait_alu 0xfffe
	s_sub_co_i32 s5, s5, s4
	v_mul_f64_e32 v[2:3], s[0:1], v[46:47]
	v_mul_f64_e32 v[6:7], s[0:1], v[58:59]
	v_add_co_u32 v4, vcc_lo, v4, v0
	s_wait_alu 0xfffd
	v_add_co_ci_u32_e32 v5, vcc_lo, v5, v1, vcc_lo
	v_mul_f64_e32 v[0:1], s[0:1], v[44:45]
	s_delay_alu instid0(VALU_DEP_3) | instskip(SKIP_1) | instid1(VALU_DEP_3)
	v_add_co_u32 v8, vcc_lo, v4, s2
	s_wait_alu 0xfffd
	v_add_co_ci_u32_e32 v9, vcc_lo, s3, v5, vcc_lo
	v_mul_f64_e32 v[10:11], s[0:1], v[62:63]
	s_delay_alu instid0(VALU_DEP_3) | instskip(SKIP_1) | instid1(VALU_DEP_3)
	;; [unrolled: 5-line block ×3, first 2 shown]
	v_add_co_u32 v14, vcc_lo, v12, s2
	s_wait_alu 0xfffd
	v_add_co_ci_u32_e32 v15, vcc_lo, s3, v13, vcc_lo
	v_mul_f64_e32 v[26:27], s[0:1], v[110:111]
	v_mul_f64_e32 v[28:29], s[0:1], v[112:113]
	;; [unrolled: 1-line block ×13, first 2 shown]
	global_store_b128 v[4:5], v[0:3], off
	v_mul_f64_e32 v[0:1], s[0:1], v[48:49]
	v_mul_f64_e32 v[2:3], s[0:1], v[50:51]
	;; [unrolled: 1-line block ×6, first 2 shown]
	global_store_b128 v[8:9], v[0:3], off
	v_mul_f64_e32 v[0:1], s[0:1], v[52:53]
	v_mul_f64_e32 v[2:3], s[0:1], v[54:55]
	v_mul_f64_e32 v[8:9], s[0:1], v[60:61]
	v_mul_f64_e32 v[52:53], s[0:1], v[136:137]
	v_mul_f64_e32 v[54:55], s[0:1], v[138:139]
	v_mul_f64_e32 v[60:61], s[0:1], v[144:145]
	global_store_b128 v[12:13], v[0:3], off
	v_add_co_u32 v12, vcc_lo, v14, s2
	s_wait_alu 0xfffd
	v_add_co_ci_u32_e32 v13, vcc_lo, s3, v15, vcc_lo
	global_store_b128 v[14:15], v[4:7], off
	v_add_co_u32 v16, vcc_lo, v12, s2
	s_wait_alu 0xfffd
	v_add_co_ci_u32_e32 v17, vcc_lo, s3, v13, vcc_lo
	v_mul_f64_e32 v[0:1], s[0:1], v[64:65]
	s_delay_alu instid0(VALU_DEP_3) | instskip(SKIP_1) | instid1(VALU_DEP_3)
	v_add_co_u32 v18, vcc_lo, v16, s2
	s_wait_alu 0xfffd
	v_add_co_ci_u32_e32 v19, vcc_lo, s3, v17, vcc_lo
	v_mul_f64_e32 v[2:3], s[0:1], v[66:67]
	s_delay_alu instid0(VALU_DEP_3) | instskip(SKIP_1) | instid1(VALU_DEP_3)
	;; [unrolled: 5-line block ×4, first 2 shown]
	v_add_co_u32 v22, vcc_lo, v20, s2
	s_wait_alu 0xfffd
	v_add_co_ci_u32_e32 v23, vcc_lo, s3, v21, vcc_lo
	global_store_b128 v[12:13], v[8:11], off
	v_mul_f64_e32 v[8:9], s[0:1], v[72:73]
	v_mul_f64_e32 v[10:11], s[0:1], v[74:75]
	v_mad_co_u64_u32 v[164:165], null, 0xffff7c60, s4, v[22:23]
	v_mul_f64_e32 v[12:13], s[0:1], v[96:97]
	v_mul_f64_e32 v[64:65], s[0:1], v[148:149]
	;; [unrolled: 1-line block ×6, first 2 shown]
	s_wait_alu 0xfffe
	v_add_nc_u32_e32 v165, s5, v165
	v_add_co_u32 v166, vcc_lo, v164, s2
	v_mul_f64_e32 v[74:75], s[0:1], v[158:159]
	s_wait_alu 0xfffd
	s_delay_alu instid0(VALU_DEP_3) | instskip(NEXT) | instid1(VALU_DEP_3)
	v_add_co_ci_u32_e32 v167, vcc_lo, s3, v165, vcc_lo
	v_add_co_u32 v168, vcc_lo, v166, s2
	s_wait_alu 0xfffd
	s_delay_alu instid0(VALU_DEP_2) | instskip(NEXT) | instid1(VALU_DEP_2)
	v_add_co_ci_u32_e32 v169, vcc_lo, s3, v167, vcc_lo
	v_add_co_u32 v170, vcc_lo, v168, s2
	global_store_b128 v[16:17], v[0:3], off
	s_wait_alu 0xfffd
	v_add_co_ci_u32_e32 v171, vcc_lo, s3, v169, vcc_lo
	v_add_co_u32 v172, vcc_lo, v170, s2
	v_mul_f64_e32 v[0:1], s[0:1], v[76:77]
	s_wait_alu 0xfffd
	s_delay_alu instid0(VALU_DEP_3) | instskip(SKIP_3) | instid1(VALU_DEP_3)
	v_add_co_ci_u32_e32 v173, vcc_lo, s3, v171, vcc_lo
	v_mul_f64_e32 v[2:3], s[0:1], v[78:79]
	v_add_co_u32 v174, vcc_lo, v172, s2
	s_wait_alu 0xfffd
	v_add_co_ci_u32_e32 v175, vcc_lo, s3, v173, vcc_lo
	global_store_b128 v[18:19], v[4:7], off
	v_mul_f64_e32 v[4:5], s[0:1], v[80:81]
	v_mul_f64_e32 v[6:7], s[0:1], v[82:83]
	v_add_co_u32 v176, vcc_lo, v174, s2
	s_wait_alu 0xfffd
	v_add_co_ci_u32_e32 v177, vcc_lo, s3, v175, vcc_lo
	global_store_b128 v[14:15], v[8:11], off
	v_add_co_u32 v178, vcc_lo, v176, s2
	s_wait_alu 0xfffd
	v_add_co_ci_u32_e32 v179, vcc_lo, s3, v177, vcc_lo
	v_mul_f64_e32 v[8:9], s[0:1], v[92:93]
	s_delay_alu instid0(VALU_DEP_3) | instskip(SKIP_1) | instid1(VALU_DEP_3)
	v_add_co_u32 v80, vcc_lo, v178, s2
	s_wait_alu 0xfffd
	v_add_co_ci_u32_e32 v81, vcc_lo, s3, v179, vcc_lo
	v_mul_f64_e32 v[10:11], s[0:1], v[94:95]
	s_delay_alu instid0(VALU_DEP_3) | instskip(SKIP_1) | instid1(VALU_DEP_3)
	v_add_co_u32 v82, vcc_lo, v80, s2
	s_wait_alu 0xfffd
	v_add_co_ci_u32_e32 v83, vcc_lo, s3, v81, vcc_lo
	v_mul_f64_e32 v[14:15], s[0:1], v[98:99]
	v_mul_f64_e32 v[16:17], s[0:1], v[100:101]
	;; [unrolled: 1-line block ×3, first 2 shown]
	s_delay_alu instid0(VALU_DEP_4) | instskip(SKIP_2) | instid1(VALU_DEP_3)
	v_mad_co_u64_u32 v[180:181], null, 0xffff7c60, s4, v[82:83]
	v_mul_f64_e32 v[76:77], s[0:1], v[160:161]
	v_mul_f64_e32 v[78:79], s[0:1], v[162:163]
	v_add_nc_u32_e32 v181, s5, v181
	global_store_b128 v[20:21], v[0:3], off
	v_mul_f64_e32 v[0:1], s[0:1], v[84:85]
	v_mul_f64_e32 v[2:3], s[0:1], v[86:87]
	v_add_co_u32 v182, vcc_lo, v180, s2
	s_wait_alu 0xfffd
	v_add_co_ci_u32_e32 v183, vcc_lo, s3, v181, vcc_lo
	global_store_b128 v[22:23], v[4:7], off
	v_mul_f64_e32 v[4:5], s[0:1], v[88:89]
	v_mul_f64_e32 v[6:7], s[0:1], v[90:91]
	v_add_co_u32 v184, vcc_lo, v182, s2
	s_wait_alu 0xfffd
	v_add_co_ci_u32_e32 v185, vcc_lo, s3, v183, vcc_lo
	v_mul_f64_e32 v[20:21], s[0:1], v[104:105]
	v_mul_f64_e32 v[22:23], s[0:1], v[106:107]
	v_add_co_u32 v186, vcc_lo, v184, s2
	s_wait_alu 0xfffd
	v_add_co_ci_u32_e32 v187, vcc_lo, s3, v185, vcc_lo
	s_delay_alu instid0(VALU_DEP_2) | instskip(SKIP_1) | instid1(VALU_DEP_2)
	v_add_co_u32 v188, vcc_lo, v186, s2
	s_wait_alu 0xfffd
	v_add_co_ci_u32_e32 v189, vcc_lo, s3, v187, vcc_lo
	s_delay_alu instid0(VALU_DEP_2) | instskip(SKIP_1) | instid1(VALU_DEP_2)
	;; [unrolled: 4-line block ×4, first 2 shown]
	v_add_co_u32 v86, vcc_lo, v84, s2
	s_wait_alu 0xfffd
	v_add_co_ci_u32_e32 v87, vcc_lo, s3, v85, vcc_lo
	global_store_b128 v[164:165], v[0:3], off
	v_add_co_u32 v0, vcc_lo, v86, s2
	s_wait_alu 0xfffd
	v_add_co_ci_u32_e32 v1, vcc_lo, s3, v87, vcc_lo
	s_delay_alu instid0(VALU_DEP_2) | instskip(SKIP_1) | instid1(VALU_DEP_2)
	v_add_co_u32 v2, vcc_lo, v0, s2
	s_wait_alu 0xfffd
	v_add_co_ci_u32_e32 v3, vcc_lo, s3, v1, vcc_lo
	global_store_b128 v[166:167], v[4:7], off
	global_store_b128 v[168:169], v[8:11], off
	;; [unrolled: 1-line block ×19, first 2 shown]
.LBB0_2:
	s_nop 0
	s_sendmsg sendmsg(MSG_DEALLOC_VGPRS)
	s_endpgm
	.section	.rodata,"a",@progbits
	.p2align	6, 0x0
	.amdhsa_kernel bluestein_single_fwd_len2430_dim1_dp_op_CI_CI
		.amdhsa_group_segment_fixed_size 38880
		.amdhsa_private_segment_fixed_size 1932
		.amdhsa_kernarg_size 104
		.amdhsa_user_sgpr_count 2
		.amdhsa_user_sgpr_dispatch_ptr 0
		.amdhsa_user_sgpr_queue_ptr 0
		.amdhsa_user_sgpr_kernarg_segment_ptr 1
		.amdhsa_user_sgpr_dispatch_id 0
		.amdhsa_user_sgpr_private_segment_size 0
		.amdhsa_wavefront_size32 1
		.amdhsa_uses_dynamic_stack 0
		.amdhsa_enable_private_segment 1
		.amdhsa_system_sgpr_workgroup_id_x 1
		.amdhsa_system_sgpr_workgroup_id_y 0
		.amdhsa_system_sgpr_workgroup_id_z 0
		.amdhsa_system_sgpr_workgroup_info 0
		.amdhsa_system_vgpr_workitem_id 0
		.amdhsa_next_free_vgpr 256
		.amdhsa_next_free_sgpr 31
		.amdhsa_reserve_vcc 1
		.amdhsa_float_round_mode_32 0
		.amdhsa_float_round_mode_16_64 0
		.amdhsa_float_denorm_mode_32 3
		.amdhsa_float_denorm_mode_16_64 3
		.amdhsa_fp16_overflow 0
		.amdhsa_workgroup_processor_mode 1
		.amdhsa_memory_ordered 1
		.amdhsa_forward_progress 0
		.amdhsa_round_robin_scheduling 0
		.amdhsa_exception_fp_ieee_invalid_op 0
		.amdhsa_exception_fp_denorm_src 0
		.amdhsa_exception_fp_ieee_div_zero 0
		.amdhsa_exception_fp_ieee_overflow 0
		.amdhsa_exception_fp_ieee_underflow 0
		.amdhsa_exception_fp_ieee_inexact 0
		.amdhsa_exception_int_div_zero 0
	.end_amdhsa_kernel
	.text
.Lfunc_end0:
	.size	bluestein_single_fwd_len2430_dim1_dp_op_CI_CI, .Lfunc_end0-bluestein_single_fwd_len2430_dim1_dp_op_CI_CI
                                        ; -- End function
	.section	.AMDGPU.csdata,"",@progbits
; Kernel info:
; codeLenInByte = 45108
; NumSgprs: 33
; NumVgprs: 256
; ScratchSize: 1932
; MemoryBound: 0
; FloatMode: 240
; IeeeMode: 1
; LDSByteSize: 38880 bytes/workgroup (compile time only)
; SGPRBlocks: 4
; VGPRBlocks: 31
; NumSGPRsForWavesPerEU: 33
; NumVGPRsForWavesPerEU: 256
; Occupancy: 3
; WaveLimiterHint : 1
; COMPUTE_PGM_RSRC2:SCRATCH_EN: 1
; COMPUTE_PGM_RSRC2:USER_SGPR: 2
; COMPUTE_PGM_RSRC2:TRAP_HANDLER: 0
; COMPUTE_PGM_RSRC2:TGID_X_EN: 1
; COMPUTE_PGM_RSRC2:TGID_Y_EN: 0
; COMPUTE_PGM_RSRC2:TGID_Z_EN: 0
; COMPUTE_PGM_RSRC2:TIDIG_COMP_CNT: 0
	.text
	.p2alignl 7, 3214868480
	.fill 96, 4, 3214868480
	.type	__hip_cuid_f3c78f3142c18f04,@object ; @__hip_cuid_f3c78f3142c18f04
	.section	.bss,"aw",@nobits
	.globl	__hip_cuid_f3c78f3142c18f04
__hip_cuid_f3c78f3142c18f04:
	.byte	0                               ; 0x0
	.size	__hip_cuid_f3c78f3142c18f04, 1

	.ident	"AMD clang version 19.0.0git (https://github.com/RadeonOpenCompute/llvm-project roc-6.4.0 25133 c7fe45cf4b819c5991fe208aaa96edf142730f1d)"
	.section	".note.GNU-stack","",@progbits
	.addrsig
	.addrsig_sym __hip_cuid_f3c78f3142c18f04
	.amdgpu_metadata
---
amdhsa.kernels:
  - .args:
      - .actual_access:  read_only
        .address_space:  global
        .offset:         0
        .size:           8
        .value_kind:     global_buffer
      - .actual_access:  read_only
        .address_space:  global
        .offset:         8
        .size:           8
        .value_kind:     global_buffer
      - .actual_access:  read_only
        .address_space:  global
        .offset:         16
        .size:           8
        .value_kind:     global_buffer
      - .actual_access:  read_only
        .address_space:  global
        .offset:         24
        .size:           8
        .value_kind:     global_buffer
      - .actual_access:  read_only
        .address_space:  global
        .offset:         32
        .size:           8
        .value_kind:     global_buffer
      - .offset:         40
        .size:           8
        .value_kind:     by_value
      - .address_space:  global
        .offset:         48
        .size:           8
        .value_kind:     global_buffer
      - .address_space:  global
        .offset:         56
        .size:           8
        .value_kind:     global_buffer
      - .address_space:  global
        .offset:         64
        .size:           8
        .value_kind:     global_buffer
      - .address_space:  global
        .offset:         72
        .size:           8
        .value_kind:     global_buffer
      - .offset:         80
        .size:           4
        .value_kind:     by_value
      - .address_space:  global
        .offset:         88
        .size:           8
        .value_kind:     global_buffer
      - .address_space:  global
        .offset:         96
        .size:           8
        .value_kind:     global_buffer
    .group_segment_fixed_size: 38880
    .kernarg_segment_align: 8
    .kernarg_segment_size: 104
    .language:       OpenCL C
    .language_version:
      - 2
      - 0
    .max_flat_workgroup_size: 81
    .name:           bluestein_single_fwd_len2430_dim1_dp_op_CI_CI
    .private_segment_fixed_size: 1932
    .sgpr_count:     33
    .sgpr_spill_count: 0
    .symbol:         bluestein_single_fwd_len2430_dim1_dp_op_CI_CI.kd
    .uniform_work_group_size: 1
    .uses_dynamic_stack: false
    .vgpr_count:     256
    .vgpr_spill_count: 485
    .wavefront_size: 32
    .workgroup_processor_mode: 1
amdhsa.target:   amdgcn-amd-amdhsa--gfx1201
amdhsa.version:
  - 1
  - 2
...

	.end_amdgpu_metadata
